;; amdgpu-corpus repo=ROCm/rocFFT kind=compiled arch=gfx1030 opt=O3
	.text
	.amdgcn_target "amdgcn-amd-amdhsa--gfx1030"
	.amdhsa_code_object_version 6
	.protected	bluestein_single_fwd_len1300_dim1_dp_op_CI_CI ; -- Begin function bluestein_single_fwd_len1300_dim1_dp_op_CI_CI
	.globl	bluestein_single_fwd_len1300_dim1_dp_op_CI_CI
	.p2align	8
	.type	bluestein_single_fwd_len1300_dim1_dp_op_CI_CI,@function
bluestein_single_fwd_len1300_dim1_dp_op_CI_CI: ; @bluestein_single_fwd_len1300_dim1_dp_op_CI_CI
; %bb.0:
	s_load_dwordx4 s[12:15], s[4:5], 0x28
	v_mul_u32_u24_e32 v1, 0x1f9, v0
	s_mov_b64 s[46:47], s[2:3]
	s_mov_b64 s[44:45], s[0:1]
	v_mov_b32_e32 v255, 0
	s_add_u32 s44, s44, s7
	v_lshrrev_b32_e32 v1, 16, v1
	s_addc_u32 s45, s45, 0
	s_mov_b32 s0, exec_lo
	v_add_nc_u32_e32 v254, s6, v1
	s_waitcnt lgkmcnt(0)
	v_cmpx_gt_u64_e64 s[12:13], v[254:255]
	s_cbranch_execz .LBB0_10
; %bb.1:
	s_clause 0x1
	s_load_dwordx4 s[8:11], s[4:5], 0x18
	s_load_dwordx4 s[0:3], s[4:5], 0x0
	v_mul_lo_u16 v1, 0x82, v1
	s_mov_b32 s7, 0xbfee6f0e
	s_mov_b32 s12, 0x4755a5e
	s_mov_b32 s13, 0x3fe2cf23
	s_load_dwordx2 s[4:5], s[4:5], 0x38
	v_sub_nc_u16 v0, v0, v1
                                        ; implicit-def: $vgpr164_vgpr165
                                        ; implicit-def: $vgpr168_vgpr169
                                        ; implicit-def: $vgpr172_vgpr173
	v_and_b32_e32 v236, 0xffff, v0
	v_lshlrev_b32_e32 v255, 4, v236
	s_waitcnt lgkmcnt(0)
	s_load_dwordx4 s[16:19], s[8:9], 0x0
	v_add_co_u32 v176, s6, s0, v255
	v_add_co_ci_u32_e64 v231, null, s1, 0, s6
	global_load_dwordx4 v[237:240], v255, s[0:1]
	v_add_co_u32 v1, vcc_lo, 0x800, v176
	v_add_co_ci_u32_e32 v2, vcc_lo, 0, v231, vcc_lo
	v_add_co_u32 v3, vcc_lo, 0x1000, v176
	v_add_co_ci_u32_e32 v4, vcc_lo, 0, v231, vcc_lo
	;; [unrolled: 2-line block ×3, first 2 shown]
	v_add_co_u32 v7, vcc_lo, 0x2000, v176
	s_waitcnt lgkmcnt(0)
	v_mad_u64_u32 v[11:12], null, s18, v254, 0
	v_mad_u64_u32 v[13:14], null, s16, v236, 0
	v_add_co_ci_u32_e32 v8, vcc_lo, 0, v231, vcc_lo
	v_add_co_u32 v9, vcc_lo, 0x2800, v176
	v_add_co_ci_u32_e32 v10, vcc_lo, 0, v231, vcc_lo
	v_add_co_u32 v15, vcc_lo, 0x3000, v176
	v_mad_u64_u32 v[17:18], null, s19, v254, v[12:13]
	v_add_co_ci_u32_e32 v16, vcc_lo, 0, v231, vcc_lo
	v_mad_u64_u32 v[18:19], null, s17, v236, v[14:15]
	v_add_co_u32 v33, vcc_lo, 0x3800, v176
	v_mov_b32_e32 v12, v17
	v_add_co_ci_u32_e32 v34, vcc_lo, 0, v231, vcc_lo
	v_add_co_u32 v37, vcc_lo, 0x4000, v176
	global_load_dwordx4 v[105:108], v[1:2], off offset:32
	v_mov_b32_e32 v14, v18
	v_lshlrev_b64 v[1:2], 4, v[11:12]
	v_add_co_ci_u32_e32 v38, vcc_lo, 0, v231, vcc_lo
	v_add_co_u32 v39, vcc_lo, 0x4800, v176
	v_add_co_ci_u32_e32 v40, vcc_lo, 0, v231, vcc_lo
	s_clause 0x2
	global_load_dwordx4 v[89:92], v[3:4], off offset:64
	global_load_dwordx4 v[85:88], v[5:6], off offset:96
	;; [unrolled: 1-line block ×3, first 2 shown]
	v_lshlrev_b64 v[3:4], 4, v[13:14]
	v_add_co_u32 v1, vcc_lo, s14, v1
	v_add_co_ci_u32_e32 v2, vcc_lo, s15, v2, vcc_lo
	s_mul_i32 s0, s17, 0x820
	v_add_co_u32 v1, vcc_lo, v1, v3
	v_add_co_ci_u32_e32 v2, vcc_lo, v2, v4, vcc_lo
	s_mul_hi_u32 s1, s16, 0x820
	s_mul_i32 s6, s16, 0x820
	s_add_i32 s1, s1, s0
	v_add_co_u32 v5, vcc_lo, v1, s6
	v_add_co_ci_u32_e32 v6, vcc_lo, s1, v2, vcc_lo
	s_clause 0x1
	global_load_dwordx4 v[245:248], v[9:10], off offset:160
	global_load_dwordx4 v[81:84], v[15:16], off offset:192
	v_add_co_u32 v9, vcc_lo, v5, s6
	v_add_co_ci_u32_e32 v10, vcc_lo, s1, v6, vcc_lo
	s_clause 0x1
	global_load_dwordx4 v[1:4], v[1:2], off
	global_load_dwordx4 v[5:8], v[5:6], off
	v_add_co_u32 v13, vcc_lo, v9, s6
	v_add_co_ci_u32_e32 v14, vcc_lo, s1, v10, vcc_lo
	global_load_dwordx4 v[9:12], v[9:10], off
	v_add_co_u32 v17, vcc_lo, v13, s6
	v_add_co_ci_u32_e32 v18, vcc_lo, s1, v14, vcc_lo
	;; [unrolled: 3-line block ×7, first 2 shown]
	global_load_dwordx4 v[93:96], v[33:34], off offset:224
	global_load_dwordx4 v[33:36], v[35:36], off
	s_clause 0x1
	global_load_dwordx4 v[97:100], v[37:38], off offset:256
	global_load_dwordx4 v[101:104], v[39:40], off offset:288
	global_load_dwordx4 v[37:40], v[41:42], off
	s_mov_b32 s0, 0x134454ff
	s_mov_b32 s1, 0x3fee6f0e
	;; [unrolled: 1-line block ×9, first 2 shown]
	v_cmp_gt_u16_e32 vcc_lo, 0x64, v0
	s_waitcnt vmcnt(12)
	v_mul_f64 v[41:42], v[3:4], v[239:240]
	s_waitcnt vmcnt(11)
	v_mul_f64 v[45:46], v[7:8], v[107:108]
	v_mul_f64 v[47:48], v[5:6], v[107:108]
	;; [unrolled: 1-line block ×3, first 2 shown]
	s_waitcnt vmcnt(10)
	v_mul_f64 v[49:50], v[11:12], v[91:92]
	v_mul_f64 v[51:52], v[9:10], v[91:92]
	s_waitcnt vmcnt(9)
	v_mul_f64 v[53:54], v[15:16], v[87:88]
	v_mul_f64 v[55:56], v[13:14], v[87:88]
	s_waitcnt vmcnt(8)
	v_mul_f64 v[57:58], v[19:20], v[227:228]
	v_mul_f64 v[59:60], v[17:18], v[227:228]
	s_waitcnt vmcnt(7)
	v_mul_f64 v[61:62], v[23:24], v[247:248]
	v_mul_f64 v[63:64], v[21:22], v[247:248]
	v_fma_f64 v[5:6], v[5:6], v[105:106], v[45:46]
	buffer_store_dword v105, off, s[44:47], 0 offset:96 ; 4-byte Folded Spill
	buffer_store_dword v106, off, s[44:47], 0 offset:100 ; 4-byte Folded Spill
	;; [unrolled: 1-line block ×4, first 2 shown]
	v_fma_f64 v[1:2], v[1:2], v[237:238], v[41:42]
	s_waitcnt vmcnt(6)
	v_mul_f64 v[65:66], v[27:28], v[83:84]
	v_mul_f64 v[67:68], v[25:26], v[83:84]
	v_fma_f64 v[9:10], v[9:10], v[89:90], v[49:50]
	buffer_store_dword v89, off, s[44:47], 0 offset:32 ; 4-byte Folded Spill
	buffer_store_dword v90, off, s[44:47], 0 offset:36 ; 4-byte Folded Spill
	;; [unrolled: 1-line block ×4, first 2 shown]
	v_fma_f64 v[3:4], v[3:4], v[237:238], -v[43:44]
	s_waitcnt vmcnt(4)
	v_mul_f64 v[69:70], v[31:32], v[95:96]
	v_fma_f64 v[13:14], v[13:14], v[85:86], v[53:54]
	s_waitcnt vmcnt(2)
	v_mul_f64 v[73:74], v[35:36], v[99:100]
	buffer_store_dword v85, off, s[44:47], 0 offset:16 ; 4-byte Folded Spill
	buffer_store_dword v86, off, s[44:47], 0 offset:20 ; 4-byte Folded Spill
	;; [unrolled: 1-line block ×4, first 2 shown]
	s_waitcnt vmcnt(0)
	v_mul_f64 v[77:78], v[39:40], v[103:104]
	v_mul_f64 v[71:72], v[29:30], v[95:96]
	;; [unrolled: 1-line block ×4, first 2 shown]
	v_fma_f64 v[17:18], v[17:18], v[225:226], v[57:58]
	v_fma_f64 v[19:20], v[19:20], v[225:226], -v[59:60]
	v_fma_f64 v[21:22], v[21:22], v[245:246], v[61:62]
	v_fma_f64 v[23:24], v[23:24], v[245:246], -v[63:64]
	v_fma_f64 v[25:26], v[25:26], v[81:82], v[65:66]
	buffer_store_dword v81, off, s[44:47], 0 ; 4-byte Folded Spill
	buffer_store_dword v82, off, s[44:47], 0 offset:4 ; 4-byte Folded Spill
	buffer_store_dword v83, off, s[44:47], 0 offset:8 ; 4-byte Folded Spill
	buffer_store_dword v84, off, s[44:47], 0 offset:12 ; 4-byte Folded Spill
	v_fma_f64 v[29:30], v[29:30], v[93:94], v[69:70]
	buffer_store_dword v93, off, s[44:47], 0 offset:48 ; 4-byte Folded Spill
	buffer_store_dword v94, off, s[44:47], 0 offset:52 ; 4-byte Folded Spill
	buffer_store_dword v95, off, s[44:47], 0 offset:56 ; 4-byte Folded Spill
	buffer_store_dword v96, off, s[44:47], 0 offset:60 ; 4-byte Folded Spill
	v_fma_f64 v[33:34], v[33:34], v[97:98], v[73:74]
	buffer_store_dword v97, off, s[44:47], 0 offset:64 ; 4-byte Folded Spill
	;; [unrolled: 5-line block ×3, first 2 shown]
	buffer_store_dword v102, off, s[44:47], 0 offset:84 ; 4-byte Folded Spill
	buffer_store_dword v103, off, s[44:47], 0 offset:88 ; 4-byte Folded Spill
	;; [unrolled: 1-line block ×3, first 2 shown]
	s_load_dwordx4 s[8:11], s[10:11], 0x0
	v_fma_f64 v[7:8], v[7:8], v[105:106], -v[47:48]
	v_fma_f64 v[11:12], v[11:12], v[89:90], -v[51:52]
	;; [unrolled: 1-line block ×7, first 2 shown]
	ds_write_b128 v255, v[1:4]
	ds_write_b128 v255, v[5:8] offset:2080
	ds_write_b128 v255, v[9:12] offset:4160
	;; [unrolled: 1-line block ×9, first 2 shown]
	s_waitcnt lgkmcnt(0)
	s_waitcnt_vscnt null, 0x0
	s_barrier
	buffer_gl0_inv
	ds_read_b128 v[1:4], v255 offset:6240
	ds_read_b128 v[56:59], v255 offset:10400
	;; [unrolled: 1-line block ×8, first 2 shown]
	ds_read_b128 v[64:67], v255
	ds_read_b128 v[9:12], v255 offset:2080
	v_and_b32_e32 v21, 0xff, v0
	s_waitcnt lgkmcnt(0)
	s_barrier
	buffer_gl0_inv
	v_mul_lo_u16 v39, 0xcd, v21
	v_add_f64 v[80:81], v[1:2], -v[56:57]
	v_add_f64 v[13:14], v[56:57], v[48:49]
	v_add_f64 v[15:16], v[1:2], v[40:41]
	v_add_f64 v[17:18], v[3:4], v[42:43]
	v_add_f64 v[19:20], v[58:59], v[50:51]
	v_add_f64 v[31:32], v[3:4], -v[42:43]
	v_add_f64 v[33:34], v[58:59], -v[50:51]
	;; [unrolled: 1-line block ×4, first 2 shown]
	v_add_f64 v[21:22], v[64:65], v[5:6]
	v_add_f64 v[25:26], v[60:61], v[52:53]
	;; [unrolled: 1-line block ×5, first 2 shown]
	v_add_f64 v[84:85], v[40:41], -v[48:49]
	v_add_f64 v[82:83], v[58:59], -v[3:4]
	;; [unrolled: 1-line block ×5, first 2 shown]
	v_add_f64 v[23:24], v[66:67], v[7:8]
	v_add_f64 v[68:69], v[7:8], -v[46:47]
	v_add_f64 v[70:71], v[62:63], -v[54:55]
	;; [unrolled: 1-line block ×3, first 2 shown]
	v_fma_f64 v[13:14], v[13:14], -0.5, v[9:10]
	v_fma_f64 v[15:16], v[15:16], -0.5, v[9:10]
	;; [unrolled: 1-line block ×4, first 2 shown]
	v_add_f64 v[9:10], v[9:10], v[1:2]
	v_add_f64 v[1:2], v[56:57], -v[1:2]
	v_add_f64 v[11:12], v[11:12], v[3:4]
	v_add_f64 v[3:4], v[3:4], -v[58:59]
	v_add_f64 v[76:77], v[60:61], -v[5:6]
	;; [unrolled: 1-line block ×5, first 2 shown]
	v_fma_f64 v[25:26], v[25:26], -0.5, v[64:65]
	v_add_f64 v[21:22], v[21:22], v[60:61]
	v_fma_f64 v[27:28], v[27:28], -0.5, v[64:65]
	v_fma_f64 v[29:30], v[29:30], -0.5, v[66:67]
	;; [unrolled: 1-line block ×3, first 2 shown]
	v_add_f64 v[60:61], v[80:81], v[84:85]
	v_add_f64 v[104:105], v[52:53], -v[44:45]
	v_add_f64 v[64:65], v[82:83], v[88:89]
	v_add_f64 v[23:24], v[23:24], v[62:63]
	v_add_f64 v[78:79], v[7:8], -v[62:63]
	v_fma_f64 v[90:91], v[31:32], s[0:1], v[13:14]
	v_fma_f64 v[94:95], v[33:34], s[0:1], v[15:16]
	;; [unrolled: 1-line block ×8, first 2 shown]
	v_add_f64 v[1:2], v[1:2], v[86:87]
	v_add_f64 v[3:4], v[3:4], v[96:97]
	;; [unrolled: 1-line block ×4, first 2 shown]
	v_add_f64 v[7:8], v[62:63], -v[7:8]
	v_add_f64 v[106:107], v[46:47], -v[54:55]
	;; [unrolled: 1-line block ×3, first 2 shown]
	v_fma_f64 v[58:59], v[68:69], s[0:1], v[25:26]
	v_fma_f64 v[62:63], v[70:71], s[6:7], v[27:28]
	;; [unrolled: 1-line block ×3, first 2 shown]
	v_add_f64 v[56:57], v[76:77], v[104:105]
	v_fma_f64 v[25:26], v[68:69], s[6:7], v[25:26]
	v_add_f64 v[21:22], v[21:22], v[52:53]
	v_add_f64 v[23:24], v[23:24], v[54:55]
	v_fma_f64 v[66:67], v[33:34], s[12:13], v[90:91]
	v_fma_f64 v[82:83], v[31:32], s[14:15], v[94:95]
	;; [unrolled: 1-line block ×7, first 2 shown]
	v_add_f64 v[33:34], v[74:75], v[100:101]
	v_fma_f64 v[72:73], v[5:6], s[6:7], v[29:30]
	v_fma_f64 v[74:75], v[102:103], s[0:1], v[37:38]
	;; [unrolled: 1-line block ×5, first 2 shown]
	v_add_f64 v[9:10], v[9:10], v[48:49]
	v_add_f64 v[11:12], v[11:12], v[50:51]
	;; [unrolled: 1-line block ×3, first 2 shown]
	v_fma_f64 v[48:49], v[70:71], s[12:13], v[58:59]
	v_fma_f64 v[50:51], v[68:69], s[12:13], v[62:63]
	;; [unrolled: 1-line block ×4, first 2 shown]
	v_add_f64 v[21:22], v[21:22], v[44:45]
	v_add_f64 v[23:24], v[23:24], v[46:47]
	v_fma_f64 v[35:36], v[60:61], s[16:17], v[66:67]
	v_fma_f64 v[76:77], v[1:2], s[16:17], v[82:83]
	;; [unrolled: 1-line block ×7, first 2 shown]
	v_add_f64 v[60:61], v[78:79], v[106:107]
	v_fma_f64 v[52:53], v[102:103], s[14:15], v[72:73]
	v_fma_f64 v[54:55], v[5:6], s[14:15], v[74:75]
	;; [unrolled: 1-line block ×5, first 2 shown]
	v_add_f64 v[9:10], v[9:10], v[40:41]
	v_add_f64 v[11:12], v[11:12], v[42:43]
	v_lshrrev_b16 v2, 11, v39
	v_fma_f64 v[39:40], v[33:34], s[16:17], v[48:49]
	v_fma_f64 v[41:42], v[56:57], s[16:17], v[50:51]
	v_fma_f64 v[43:44], v[56:57], s[16:17], v[27:28]
	v_fma_f64 v[33:34], v[33:34], s[16:17], v[25:26]
	v_mul_lo_u16 v1, v2, 10
	v_mul_f64 v[19:20], v[35:36], s[18:19]
	v_mul_f64 v[35:36], v[35:36], s[14:15]
	;; [unrolled: 1-line block ×8, first 2 shown]
	v_fma_f64 v[45:46], v[60:61], s[16:17], v[52:53]
	v_fma_f64 v[49:50], v[7:8], s[16:17], v[54:55]
	v_sub_nc_u16 v1, v0, v1
	v_fma_f64 v[47:48], v[60:61], s[16:17], v[29:30]
	v_fma_f64 v[51:52], v[7:8], s[16:17], v[5:6]
	v_add_f64 v[7:8], v[21:22], -v[9:10]
	v_add_f64 v[5:6], v[23:24], v[11:12]
	v_and_b32_e32 v1, 0xff, v1
	v_fma_f64 v[27:28], v[3:4], s[12:13], v[19:20]
	v_fma_f64 v[55:56], v[3:4], s[18:19], v[35:36]
	;; [unrolled: 1-line block ×3, first 2 shown]
	v_fma_f64 v[37:38], v[17:18], s[0:1], -v[58:59]
	v_fma_f64 v[57:58], v[66:67], s[16:17], v[64:65]
	v_fma_f64 v[59:60], v[76:77], s[6:7], -v[68:69]
	v_fma_f64 v[53:54], v[31:32], s[12:13], -v[62:63]
	;; [unrolled: 1-line block ×3, first 2 shown]
	v_add_f64 v[3:4], v[21:22], v[9:10]
	v_add_f64 v[9:10], v[23:24], -v[11:12]
	v_add_f64 v[11:12], v[39:40], v[27:28]
	v_add_f64 v[13:14], v[45:46], v[55:56]
	;; [unrolled: 1-line block ×8, first 2 shown]
	v_add_f64 v[27:28], v[39:40], -v[27:28]
	v_add_f64 v[31:32], v[41:42], -v[29:30]
	;; [unrolled: 1-line block ×8, first 2 shown]
	v_mov_b32_e32 v43, 4
	v_mul_lo_u16 v44, v0, 10
	v_mad_u64_u32 v[60:61], null, 0x90, v1, s[2:3]
	v_lshlrev_b32_sdwa v232, v43, v44 dst_sel:DWORD dst_unused:UNUSED_PAD src0_sel:DWORD src1_sel:WORD_0
	ds_write_b128 v232, v[3:6]
	ds_write_b128 v232, v[7:10] offset:80
	ds_write_b128 v232, v[11:14] offset:16
	;; [unrolled: 1-line block ×9, first 2 shown]
	s_waitcnt lgkmcnt(0)
	s_barrier
	buffer_gl0_inv
	s_clause 0x8
	global_load_dwordx4 v[48:51], v[60:61], off offset:64
	global_load_dwordx4 v[44:47], v[60:61], off offset:96
	;; [unrolled: 1-line block ×4, first 2 shown]
	global_load_dwordx4 v[40:43], v[60:61], off
	global_load_dwordx4 v[72:75], v[60:61], off offset:16
	global_load_dwordx4 v[68:71], v[60:61], off offset:48
	;; [unrolled: 1-line block ×4, first 2 shown]
	ds_read_b128 v[3:6], v255 offset:10400
	ds_read_b128 v[7:10], v255 offset:14560
	;; [unrolled: 1-line block ×9, first 2 shown]
	ds_read_b128 v[76:79], v255
	v_mov_b32_e32 v39, 0x64
	s_waitcnt vmcnt(0) lgkmcnt(0)
	s_barrier
	buffer_gl0_inv
	v_mul_u32_u24_sdwa v2, v2, v39 dst_sel:DWORD dst_unused:UNUSED_PAD src0_sel:WORD_0 src1_sel:DWORD
	v_add_lshl_u32 v233, v2, v1, 4
	v_mul_f64 v[80:81], v[5:6], v[50:51]
	v_mul_f64 v[82:83], v[3:4], v[50:51]
	;; [unrolled: 1-line block ×16, first 2 shown]
	v_fma_f64 v[3:4], v[3:4], v[48:49], -v[80:81]
	v_fma_f64 v[5:6], v[5:6], v[48:49], v[82:83]
	v_fma_f64 v[9:10], v[9:10], v[44:45], v[84:85]
	v_fma_f64 v[7:8], v[7:8], v[44:45], -v[86:87]
	v_fma_f64 v[11:12], v[11:12], v[52:53], -v[88:89]
	v_fma_f64 v[13:14], v[13:14], v[52:53], v[90:91]
	v_fma_f64 v[17:18], v[17:18], v[56:57], v[92:93]
	v_fma_f64 v[15:16], v[15:16], v[56:57], -v[94:95]
	v_mul_f64 v[80:81], v[31:32], v[66:67]
	v_mul_f64 v[82:83], v[35:36], v[62:63]
	v_fma_f64 v[19:20], v[19:20], v[40:41], -v[96:97]
	v_fma_f64 v[21:22], v[21:22], v[40:41], v[98:99]
	v_fma_f64 v[23:24], v[23:24], v[72:73], -v[100:101]
	v_fma_f64 v[27:28], v[27:28], v[68:69], -v[104:105]
	;; [unrolled: 1-line block ×4, first 2 shown]
	v_fma_f64 v[25:26], v[25:26], v[72:73], v[102:103]
	v_fma_f64 v[29:30], v[29:30], v[68:69], v[106:107]
	v_add_f64 v[84:85], v[5:6], v[9:10]
	v_add_f64 v[86:87], v[3:4], v[7:8]
	v_add_f64 v[96:97], v[3:4], -v[7:8]
	v_add_f64 v[98:99], v[5:6], -v[9:10]
	v_add_f64 v[88:89], v[13:14], v[17:18]
	v_add_f64 v[90:91], v[11:12], v[15:16]
	v_fma_f64 v[33:34], v[33:34], v[64:65], v[80:81]
	v_fma_f64 v[37:38], v[37:38], v[60:61], v[82:83]
	v_add_f64 v[92:93], v[11:12], -v[15:16]
	v_add_f64 v[94:95], v[13:14], -v[17:18]
	;; [unrolled: 1-line block ×4, first 2 shown]
	v_add_f64 v[80:81], v[27:28], v[31:32]
	v_add_f64 v[82:83], v[23:24], v[35:36]
	v_add_f64 v[120:121], v[13:14], -v[5:6]
	v_add_f64 v[122:123], v[17:18], -v[9:10]
	v_add_f64 v[124:125], v[7:8], -v[15:16]
	v_add_f64 v[130:131], v[9:10], -v[17:18]
	v_add_f64 v[104:105], v[76:77], v[23:24]
	v_add_f64 v[106:107], v[78:79], v[25:26]
	v_add_f64 v[108:109], v[23:24], -v[27:28]
	v_add_f64 v[110:111], v[35:36], -v[31:32]
	v_fma_f64 v[84:85], v[84:85], -0.5, v[21:22]
	v_fma_f64 v[86:87], v[86:87], -0.5, v[19:20]
	v_add_f64 v[140:141], v[23:24], -v[35:36]
	v_add_f64 v[142:143], v[27:28], -v[31:32]
	v_fma_f64 v[88:89], v[88:89], -0.5, v[21:22]
	v_fma_f64 v[90:91], v[90:91], -0.5, v[19:20]
	v_add_f64 v[100:101], v[29:30], v[33:34]
	v_add_f64 v[102:103], v[25:26], v[37:38]
	;; [unrolled: 1-line block ×4, first 2 shown]
	v_add_f64 v[11:12], v[3:4], -v[11:12]
	v_add_f64 v[13:14], v[5:6], -v[13:14]
	;; [unrolled: 1-line block ×4, first 2 shown]
	v_fma_f64 v[80:81], v[80:81], -0.5, v[76:77]
	v_fma_f64 v[76:77], v[82:83], -0.5, v[76:77]
	v_add_f64 v[112:113], v[25:26], -v[29:30]
	v_add_f64 v[114:115], v[37:38], -v[33:34]
	;; [unrolled: 1-line block ×5, first 2 shown]
	v_add_f64 v[27:28], v[104:105], v[27:28]
	v_fma_f64 v[126:127], v[92:93], s[6:7], v[84:85]
	v_fma_f64 v[128:129], v[94:95], s[0:1], v[86:87]
	;; [unrolled: 1-line block ×8, first 2 shown]
	v_fma_f64 v[82:83], v[100:101], -0.5, v[78:79]
	v_fma_f64 v[78:79], v[102:103], -0.5, v[78:79]
	v_add_f64 v[100:101], v[116:117], v[118:119]
	v_add_f64 v[102:103], v[120:121], v[122:123]
	;; [unrolled: 1-line block ×4, first 2 shown]
	v_add_f64 v[124:125], v[33:34], -v[37:38]
	v_add_f64 v[29:30], v[106:107], v[29:30]
	v_add_f64 v[3:4], v[19:20], v[3:4]
	;; [unrolled: 1-line block ×7, first 2 shown]
	v_fma_f64 v[116:117], v[96:97], s[14:15], v[126:127]
	v_fma_f64 v[118:119], v[98:99], s[12:13], v[128:129]
	;; [unrolled: 1-line block ×16, first 2 shown]
	v_add_f64 v[25:26], v[25:26], v[124:125]
	v_add_f64 v[29:30], v[29:30], v[33:34]
	;; [unrolled: 1-line block ×5, first 2 shown]
	v_fma_f64 v[104:105], v[102:103], s[16:17], v[116:117]
	v_fma_f64 v[106:107], v[100:101], s[16:17], v[118:119]
	;; [unrolled: 1-line block ×16, first 2 shown]
	v_add_f64 v[29:30], v[29:30], v[37:38]
	v_add_f64 v[3:4], v[3:4], v[15:16]
	v_add_f64 v[5:6], v[5:6], v[17:18]
	v_mul_f64 v[88:89], v[104:105], s[12:13]
	v_mul_f64 v[90:91], v[106:107], s[14:15]
	;; [unrolled: 1-line block ×8, first 2 shown]
	v_fma_f64 v[7:8], v[19:20], s[16:17], v[7:8]
	v_fma_f64 v[9:10], v[21:22], s[16:17], v[9:10]
	;; [unrolled: 1-line block ×8, first 2 shown]
	v_add_f64 v[136:137], v[27:28], v[3:4]
	v_add_f64 v[138:139], v[29:30], v[5:6]
	v_add_f64 v[128:129], v[27:28], -v[3:4]
	v_add_f64 v[130:131], v[29:30], -v[5:6]
	v_fma_f64 v[31:32], v[106:107], s[18:19], v[88:89]
	v_fma_f64 v[33:34], v[104:105], s[18:19], v[90:91]
	v_fma_f64 v[76:77], v[84:85], s[12:13], -v[100:101]
	v_fma_f64 v[78:79], v[86:87], s[14:15], -v[102:103]
	v_fma_f64 v[35:36], v[110:111], s[16:17], v[92:93]
	v_fma_f64 v[37:38], v[108:109], s[16:17], v[94:95]
	v_fma_f64 v[13:14], v[13:14], s[0:1], -v[96:97]
	v_fma_f64 v[11:12], v[11:12], s[6:7], -v[98:99]
	v_add_f64 v[132:133], v[7:8], v[31:32]
	v_add_f64 v[134:135], v[9:10], v[33:34]
	v_add_f64 v[144:145], v[7:8], -v[31:32]
	v_add_f64 v[146:147], v[9:10], -v[33:34]
	v_add_f64 v[148:149], v[15:16], v[35:36]
	v_add_f64 v[150:151], v[17:18], v[37:38]
	v_add_f64 v[124:125], v[15:16], -v[35:36]
	v_add_f64 v[126:127], v[17:18], -v[37:38]
	v_add_f64 v[140:141], v[23:24], v[13:14]
	v_add_f64 v[142:143], v[25:26], v[11:12]
	;; [unrolled: 1-line block ×4, first 2 shown]
	v_add_f64 v[156:157], v[23:24], -v[13:14]
	v_add_f64 v[158:159], v[25:26], -v[11:12]
	;; [unrolled: 1-line block ×4, first 2 shown]
	ds_write_b128 v233, v[136:139]
	ds_write_b128 v233, v[128:131] offset:800
	ds_write_b128 v233, v[132:135] offset:160
	;; [unrolled: 1-line block ×9, first 2 shown]
	s_waitcnt lgkmcnt(0)
	s_barrier
	buffer_gl0_inv
	s_and_saveexec_b32 s0, vcc_lo
	s_cbranch_execz .LBB0_3
; %bb.2:
	ds_read_b128 v[136:139], v255
	ds_read_b128 v[132:135], v255 offset:1600
	ds_read_b128 v[148:151], v255 offset:3200
	;; [unrolled: 1-line block ×12, first 2 shown]
.LBB0_3:
	s_or_b32 exec_lo, exec_lo, s0
	v_add_nc_u32_e32 v0, 0xffffff9c, v236
	s_mov_b32 s12, 0x1ea71119
	s_mov_b32 s13, 0x3fe22d96
	;; [unrolled: 1-line block ×4, first 2 shown]
	v_cndmask_b32_e32 v0, v0, v236, vcc_lo
	s_mov_b32 s20, 0x66966769
	s_mov_b32 s21, 0xbfefc445
	;; [unrolled: 1-line block ×4, first 2 shown]
	v_mul_i32_i24_e32 v1, 0xc0, v0
	v_mul_hi_i32_i24_e32 v2, 0xc0, v0
	s_mov_b32 s18, 0x2ef20147
	s_mov_b32 s19, 0xbfedeba7
	;; [unrolled: 1-line block ×3, first 2 shown]
	v_add_co_u32 v0, s0, s2, v1
	v_add_co_ci_u32_e64 v1, s0, s3, v2, s0
	s_mov_b32 s0, 0x42a4c3d2
	s_mov_b32 s1, 0xbfea55e2
	;; [unrolled: 1-line block ×3, first 2 shown]
	s_clause 0xb
	global_load_dwordx4 v[76:79], v[0:1], off offset:1440
	global_load_dwordx4 v[92:95], v[0:1], off offset:1616
	;; [unrolled: 1-line block ×12, first 2 shown]
	s_mov_b32 s3, 0xbfddbe06
	s_mov_b32 s17, 0xbfd6b1d8
	;; [unrolled: 1-line block ×18, first 2 shown]
	s_waitcnt vmcnt(11) lgkmcnt(11)
	v_mul_f64 v[4:5], v[134:135], v[78:79]
	s_waitcnt vmcnt(10) lgkmcnt(0)
	v_mul_f64 v[2:3], v[172:173], v[94:95]
	s_waitcnt vmcnt(9)
	v_mul_f64 v[10:11], v[148:149], v[118:119]
	s_waitcnt vmcnt(8)
	;; [unrolled: 2-line block ×4, first 2 shown]
	v_mul_f64 v[22:23], v[166:167], v[110:111]
	v_mul_f64 v[0:1], v[132:133], v[78:79]
	;; [unrolled: 1-line block ×4, first 2 shown]
	s_waitcnt vmcnt(5)
	v_mul_f64 v[24:25], v[154:155], v[82:83]
	s_waitcnt vmcnt(4)
	v_mul_f64 v[26:27], v[162:163], v[90:91]
	v_fma_f64 v[18:19], v[132:133], v[76:77], -v[4:5]
	v_mul_f64 v[4:5], v[164:165], v[110:111]
	v_fma_f64 v[229:230], v[150:151], v[116:117], v[10:11]
	v_fma_f64 v[241:242], v[170:171], v[120:121], v[12:13]
	;; [unrolled: 1-line block ×3, first 2 shown]
	v_mul_f64 v[2:3], v[142:143], v[102:103]
	v_fma_f64 v[187:188], v[142:143], v[100:101], v[16:17]
	v_fma_f64 v[14:15], v[134:135], v[76:77], v[0:1]
	v_mul_f64 v[0:1], v[170:171], v[122:123]
	v_fma_f64 v[252:253], v[148:149], v[116:117], -v[8:9]
	v_fma_f64 v[179:180], v[172:173], v[92:93], -v[6:7]
	v_mul_f64 v[6:7], v[152:153], v[82:83]
	v_mul_f64 v[8:9], v[160:161], v[90:91]
	v_fma_f64 v[191:192], v[152:153], v[80:81], -v[24:25]
	v_fma_f64 v[152:153], v[160:161], v[88:89], -v[26:27]
	;; [unrolled: 1-line block ×3, first 2 shown]
	s_waitcnt vmcnt(1)
	v_mul_f64 v[16:17], v[144:145], v[98:99]
	v_mul_f64 v[10:11], v[128:129], v[86:87]
	;; [unrolled: 1-line block ×3, first 2 shown]
	v_fma_f64 v[166:167], v[166:167], v[108:109], v[4:5]
	v_mul_f64 v[4:5], v[146:147], v[98:99]
	v_add_f64 v[142:143], v[229:230], -v[241:242]
	v_add_f64 v[189:190], v[229:230], v[241:242]
	v_fma_f64 v[181:182], v[140:141], v[100:101], -v[2:3]
	v_mul_f64 v[2:3], v[158:159], v[106:107]
	v_add_f64 v[20:21], v[14:15], -v[177:178]
	v_fma_f64 v[249:250], v[168:169], v[120:121], -v[0:1]
	v_mul_f64 v[0:1], v[130:131], v[86:87]
	v_add_f64 v[22:23], v[18:19], v[179:180]
	v_add_f64 v[30:31], v[18:19], -v[179:180]
	v_add_f64 v[26:27], v[14:15], v[177:178]
	v_fma_f64 v[193:194], v[154:155], v[80:81], v[6:7]
	v_fma_f64 v[154:155], v[162:163], v[88:89], v[8:9]
	v_add_f64 v[168:169], v[191:192], v[152:153]
	v_add_f64 v[213:214], v[191:192], -v[152:153]
	v_fma_f64 v[199:200], v[130:131], v[84:85], v[10:11]
	v_fma_f64 v[183:184], v[158:159], v[104:105], v[12:13]
	s_waitcnt vmcnt(0)
	v_mul_f64 v[6:7], v[126:127], v[114:115]
	v_fma_f64 v[201:202], v[146:147], v[96:97], v[16:17]
	v_add_f64 v[162:163], v[187:188], -v[166:167]
	v_fma_f64 v[197:198], v[144:145], v[96:97], -v[4:5]
	v_mul_f64 v[4:5], v[142:143], s[0:1]
	v_add_f64 v[217:218], v[187:188], v[166:167]
	v_add_f64 v[144:145], v[181:182], v[164:165]
	v_fma_f64 v[170:171], v[156:157], v[104:105], -v[2:3]
	v_mul_f64 v[24:25], v[20:21], s[2:3]
	v_add_f64 v[140:141], v[252:253], v[249:250]
	v_fma_f64 v[195:196], v[128:129], v[84:85], -v[0:1]
	v_mul_f64 v[0:1], v[124:125], v[114:115]
	v_add_f64 v[160:161], v[252:253], -v[249:250]
	v_mul_f64 v[28:29], v[30:31], s[2:3]
	v_add_f64 v[205:206], v[181:182], -v[164:165]
	v_add_f64 v[211:212], v[193:194], -v[154:155]
	v_add_f64 v[219:220], v[193:194], v[154:155]
	v_mul_f64 v[8:9], v[213:214], s[18:19]
	v_mul_f64 v[32:33], v[20:21], s[0:1]
	v_add_f64 v[209:210], v[199:200], -v[183:184]
	v_fma_f64 v[221:222], v[124:125], v[112:113], -v[6:7]
	v_add_f64 v[215:216], v[199:200], v[183:184]
	v_mul_f64 v[34:35], v[30:31], s[0:1]
	v_mul_f64 v[38:39], v[142:143], s[26:27]
	;; [unrolled: 1-line block ×3, first 2 shown]
	buffer_store_dword v4, off, s[44:47], 0 offset:120 ; 4-byte Folded Spill
	buffer_store_dword v5, off, s[44:47], 0 offset:124 ; 4-byte Folded Spill
	v_fma_f64 v[2:3], v[22:23], s[6:7], v[24:25]
	v_add_f64 v[156:157], v[195:196], v[170:171]
	v_fma_f64 v[223:224], v[126:127], v[112:113], v[0:1]
	v_add_f64 v[203:204], v[195:196], -v[170:171]
	v_mul_f64 v[148:149], v[160:161], s[18:19]
	v_mul_f64 v[150:151], v[205:206], s[26:27]
	;; [unrolled: 1-line block ×3, first 2 shown]
	v_add_f64 v[146:147], v[197:198], v[221:222]
	v_add_f64 v[158:159], v[197:198], -v[221:222]
	v_add_f64 v[2:3], v[136:137], v[2:3]
	v_add_f64 v[185:186], v[201:202], -v[223:224]
	v_mul_f64 v[16:17], v[203:204], s[34:35]
	v_add_f64 v[207:208], v[201:202], v[223:224]
	v_mul_f64 v[12:13], v[158:159], s[26:27]
	v_mul_f64 v[10:11], v[185:186], s[26:27]
	v_fma_f64 v[0:1], v[140:141], s[12:13], v[4:5]
	v_mul_f64 v[4:5], v[160:161], s[0:1]
	buffer_store_dword v4, off, s[44:47], 0 offset:136 ; 4-byte Folded Spill
	buffer_store_dword v5, off, s[44:47], 0 offset:140 ; 4-byte Folded Spill
	v_add_f64 v[0:1], v[0:1], v[2:3]
	v_fma_f64 v[2:3], v[26:27], s[6:7], -v[28:29]
	v_add_f64 v[2:3], v[138:139], v[2:3]
	v_fma_f64 v[4:5], v[189:190], s[12:13], -v[4:5]
	v_add_f64 v[2:3], v[4:5], v[2:3]
	v_mul_f64 v[4:5], v[162:163], s[20:21]
	buffer_store_dword v4, off, s[44:47], 0 offset:128 ; 4-byte Folded Spill
	buffer_store_dword v5, off, s[44:47], 0 offset:132 ; 4-byte Folded Spill
	v_fma_f64 v[4:5], v[144:145], s[14:15], v[4:5]
	v_add_f64 v[0:1], v[4:5], v[0:1]
	v_mul_f64 v[4:5], v[205:206], s[20:21]
	buffer_store_dword v4, off, s[44:47], 0 offset:200 ; 4-byte Folded Spill
	buffer_store_dword v5, off, s[44:47], 0 offset:204 ; 4-byte Folded Spill
	v_fma_f64 v[4:5], v[217:218], s[14:15], -v[4:5]
	v_add_f64 v[2:3], v[4:5], v[2:3]
	v_mul_f64 v[4:5], v[211:212], s[18:19]
	buffer_store_dword v4, off, s[44:47], 0 offset:208 ; 4-byte Folded Spill
	buffer_store_dword v5, off, s[44:47], 0 offset:212 ; 4-byte Folded Spill
	v_fma_f64 v[4:5], v[168:169], s[16:17], v[4:5]
	v_add_f64 v[0:1], v[4:5], v[0:1]
	v_fma_f64 v[4:5], v[219:220], s[16:17], -v[8:9]
	v_add_f64 v[2:3], v[4:5], v[2:3]
	v_fma_f64 v[4:5], v[156:157], s[24:25], v[174:175]
	v_add_f64 v[0:1], v[4:5], v[0:1]
	v_fma_f64 v[4:5], v[215:216], s[24:25], -v[16:17]
	v_add_f64 v[2:3], v[4:5], v[2:3]
	v_fma_f64 v[4:5], v[146:147], s[22:23], v[10:11]
	v_add_f64 v[128:129], v[4:5], v[0:1]
	v_fma_f64 v[0:1], v[207:208], s[22:23], -v[12:13]
	v_fma_f64 v[4:5], v[189:190], s[16:17], -v[148:149]
	v_add_f64 v[130:131], v[0:1], v[2:3]
	v_mul_f64 v[2:3], v[142:143], s[18:19]
	v_fma_f64 v[0:1], v[22:23], s[12:13], v[32:33]
	buffer_store_dword v2, off, s[44:47], 0 offset:216 ; 4-byte Folded Spill
	buffer_store_dword v3, off, s[44:47], 0 offset:220 ; 4-byte Folded Spill
	v_add_f64 v[0:1], v[136:137], v[0:1]
	v_fma_f64 v[2:3], v[140:141], s[16:17], v[2:3]
	v_add_f64 v[0:1], v[2:3], v[0:1]
	v_fma_f64 v[2:3], v[26:27], s[12:13], -v[34:35]
	v_add_f64 v[2:3], v[138:139], v[2:3]
	v_add_f64 v[2:3], v[4:5], v[2:3]
	v_fma_f64 v[4:5], v[144:145], s[22:23], v[172:173]
	v_add_f64 v[4:5], v[4:5], v[0:1]
	v_fma_f64 v[0:1], v[217:218], s[22:23], -v[150:151]
	v_add_f64 v[2:3], v[0:1], v[2:3]
	v_mul_f64 v[0:1], v[211:212], s[36:37]
	v_fma_f64 v[6:7], v[168:169], s[24:25], v[0:1]
	v_add_f64 v[4:5], v[6:7], v[4:5]
	v_mul_f64 v[6:7], v[213:214], s[36:37]
	v_fma_f64 v[36:37], v[219:220], s[24:25], -v[6:7]
	v_add_f64 v[2:3], v[36:37], v[2:3]
	v_mul_f64 v[36:37], v[209:210], s[28:29]
	buffer_store_dword v36, off, s[44:47], 0 offset:224 ; 4-byte Folded Spill
	buffer_store_dword v37, off, s[44:47], 0 offset:228 ; 4-byte Folded Spill
	v_fma_f64 v[36:37], v[156:157], s[14:15], v[36:37]
	v_add_f64 v[4:5], v[36:37], v[4:5]
	v_mul_f64 v[36:37], v[203:204], s[28:29]
	buffer_store_dword v36, off, s[44:47], 0 offset:240 ; 4-byte Folded Spill
	buffer_store_dword v37, off, s[44:47], 0 offset:244 ; 4-byte Folded Spill
	v_fma_f64 v[36:37], v[215:216], s[14:15], -v[36:37]
	v_add_f64 v[36:37], v[36:37], v[2:3]
	v_mul_f64 v[2:3], v[185:186], s[38:39]
	buffer_store_dword v2, off, s[44:47], 0 offset:232 ; 4-byte Folded Spill
	buffer_store_dword v3, off, s[44:47], 0 offset:236 ; 4-byte Folded Spill
	;; [unrolled: 1-line block ×4, first 2 shown]
	v_fma_f64 v[2:3], v[146:147], s[6:7], v[2:3]
	v_fma_f64 v[38:39], v[140:141], s[22:23], v[38:39]
	v_add_f64 v[132:133], v[2:3], v[4:5]
	v_mul_f64 v[2:3], v[158:159], s[38:39]
	v_fma_f64 v[4:5], v[207:208], s[6:7], -v[2:3]
	v_add_f64 v[134:135], v[4:5], v[36:37]
	v_mul_f64 v[36:37], v[20:21], s[20:21]
	v_fma_f64 v[4:5], v[22:23], s[14:15], v[36:37]
	v_add_f64 v[4:5], v[136:137], v[4:5]
	v_add_f64 v[124:125], v[38:39], v[4:5]
	v_mul_f64 v[38:39], v[30:31], s[20:21]
	v_fma_f64 v[4:5], v[26:27], s[14:15], -v[38:39]
	v_add_f64 v[126:127], v[138:139], v[4:5]
	v_mul_f64 v[4:5], v[160:161], s[26:27]
	v_fma_f64 v[234:235], v[189:190], s[22:23], -v[4:5]
	v_add_f64 v[126:127], v[234:235], v[126:127]
	v_mul_f64 v[234:235], v[162:163], s[30:31]
	buffer_store_dword v234, off, s[44:47], 0 offset:168 ; 4-byte Folded Spill
	buffer_store_dword v235, off, s[44:47], 0 offset:172 ; 4-byte Folded Spill
	v_fma_f64 v[234:235], v[144:145], s[16:17], v[234:235]
	v_add_f64 v[124:125], v[234:235], v[124:125]
	v_mul_f64 v[234:235], v[205:206], s[30:31]
	buffer_store_dword v234, off, s[44:47], 0 offset:192 ; 4-byte Folded Spill
	buffer_store_dword v235, off, s[44:47], 0 offset:196 ; 4-byte Folded Spill
	v_fma_f64 v[234:235], v[217:218], s[16:17], -v[234:235]
	v_add_f64 v[126:127], v[234:235], v[126:127]
	v_mul_f64 v[234:235], v[211:212], s[38:39]
	buffer_store_dword v234, off, s[44:47], 0 offset:152 ; 4-byte Folded Spill
	buffer_store_dword v235, off, s[44:47], 0 offset:156 ; 4-byte Folded Spill
	v_fma_f64 v[234:235], v[168:169], s[6:7], v[234:235]
	v_add_f64 v[124:125], v[234:235], v[124:125]
	v_mul_f64 v[234:235], v[213:214], s[38:39]
	buffer_store_dword v234, off, s[44:47], 0 offset:184 ; 4-byte Folded Spill
	buffer_store_dword v235, off, s[44:47], 0 offset:188 ; 4-byte Folded Spill
	v_fma_f64 v[234:235], v[219:220], s[6:7], -v[234:235]
	v_add_f64 v[126:127], v[234:235], v[126:127]
	v_mul_f64 v[234:235], v[209:210], s[0:1]
	buffer_store_dword v234, off, s[44:47], 0 offset:144 ; 4-byte Folded Spill
	buffer_store_dword v235, off, s[44:47], 0 offset:148 ; 4-byte Folded Spill
	v_fma_f64 v[243:244], v[156:157], s[12:13], v[234:235]
	v_mul_f64 v[234:235], v[203:204], s[0:1]
	buffer_store_dword v234, off, s[44:47], 0 offset:176 ; 4-byte Folded Spill
	buffer_store_dword v235, off, s[44:47], 0 offset:180 ; 4-byte Folded Spill
	v_add_f64 v[124:125], v[243:244], v[124:125]
	v_mul_f64 v[243:244], v[185:186], s[34:35]
	v_fma_f64 v[234:235], v[215:216], s[12:13], -v[234:235]
	v_add_f64 v[126:127], v[234:235], v[126:127]
	v_fma_f64 v[234:235], v[146:147], s[24:25], v[243:244]
	v_add_f64 v[124:125], v[234:235], v[124:125]
	v_mul_f64 v[234:235], v[158:159], s[34:35]
	buffer_store_dword v234, off, s[44:47], 0 offset:112 ; 4-byte Folded Spill
	buffer_store_dword v235, off, s[44:47], 0 offset:116 ; 4-byte Folded Spill
	v_fma_f64 v[234:235], v[207:208], s[24:25], -v[234:235]
	v_add_f64 v[126:127], v[234:235], v[126:127]
	s_and_saveexec_b32 s33, vcc_lo
	s_cbranch_execz .LBB0_5
; %bb.4:
	v_mul_f64 v[234:235], v[26:27], s[22:23]
	s_mov_b32 s41, 0x3fcea1e5
	s_mov_b32 s40, s26
	buffer_store_dword v174, off, s[44:47], 0 offset:332 ; 4-byte Folded Spill
	buffer_store_dword v175, off, s[44:47], 0 offset:336 ; 4-byte Folded Spill
	v_add_f64 v[18:19], v[136:137], v[18:19]
	v_add_f64 v[14:15], v[138:139], v[14:15]
	s_mov_b32 s43, 0x3fea55e2
	s_mov_b32 s42, s0
	v_fma_f64 v[174:175], v[30:31], s[40:41], v[234:235]
	buffer_store_dword v174, off, s[44:47], 0 offset:300 ; 4-byte Folded Spill
	buffer_store_dword v175, off, s[44:47], 0 offset:304 ; 4-byte Folded Spill
	;; [unrolled: 1-line block ×7, first 2 shown]
	v_mul_f64 v[236:237], v[26:27], s[24:25]
	v_mul_f64 v[238:239], v[26:27], s[16:17]
	buffer_store_dword v241, off, s[44:47], 0 offset:268 ; 4-byte Folded Spill
	buffer_store_dword v242, off, s[44:47], 0 offset:272 ; 4-byte Folded Spill
	v_fma_f64 v[174:175], v[30:31], s[26:27], v[234:235]
	buffer_store_dword v243, off, s[44:47], 0 offset:292 ; 4-byte Folded Spill
	buffer_store_dword v244, off, s[44:47], 0 offset:296 ; 4-byte Folded Spill
	;; [unrolled: 1-line block ×6, first 2 shown]
	v_mov_b32_e32 v177, v225
	v_mov_b32_e32 v178, v226
	;; [unrolled: 1-line block ×8, first 2 shown]
	v_fma_f64 v[234:235], v[30:31], s[36:37], v[236:237]
	v_fma_f64 v[236:237], v[30:31], s[34:35], v[236:237]
	;; [unrolled: 1-line block ×4, first 2 shown]
	v_mul_f64 v[238:239], v[26:27], s[14:15]
	v_add_f64 v[234:235], v[138:139], v[234:235]
	v_add_f64 v[236:237], v[138:139], v[236:237]
	;; [unrolled: 1-line block ×4, first 2 shown]
	v_mul_f64 v[238:239], v[22:23], s[14:15]
	v_add_f64 v[38:39], v[138:139], v[38:39]
	v_add_f64 v[36:37], v[238:239], -v[36:37]
	v_mul_f64 v[238:239], v[26:27], s[12:13]
	v_mul_f64 v[26:27], v[26:27], s[6:7]
	v_add_f64 v[36:37], v[136:137], v[36:37]
	v_add_f64 v[34:35], v[34:35], v[238:239]
	;; [unrolled: 1-line block ×3, first 2 shown]
	v_mul_f64 v[28:29], v[22:23], s[6:7]
	v_mul_f64 v[238:239], v[20:21], s[34:35]
	v_add_f64 v[34:35], v[138:139], v[34:35]
	v_add_f64 v[26:27], v[138:139], v[26:27]
	v_add_f64 v[24:25], v[28:29], -v[24:25]
	v_mul_f64 v[28:29], v[22:23], s[12:13]
	v_fma_f64 v[244:245], v[22:23], s[24:25], v[238:239]
	v_fma_f64 v[238:239], v[22:23], s[24:25], -v[238:239]
	v_add_f64 v[24:25], v[136:137], v[24:25]
	v_add_f64 v[28:29], v[28:29], -v[32:33]
	v_mul_f64 v[32:33], v[20:21], s[26:27]
	v_mul_f64 v[20:21], v[20:21], s[18:19]
	v_add_f64 v[244:245], v[136:137], v[244:245]
	v_add_f64 v[238:239], v[136:137], v[238:239]
	;; [unrolled: 1-line block ×3, first 2 shown]
	v_fma_f64 v[242:243], v[22:23], s[22:23], v[32:33]
	v_fma_f64 v[246:247], v[22:23], s[16:17], -v[20:21]
	v_fma_f64 v[20:21], v[22:23], s[16:17], v[20:21]
	v_fma_f64 v[32:33], v[22:23], s[22:23], -v[32:33]
	s_clause 0x1
	buffer_load_dword v22, off, s[44:47], 0 offset:300
	buffer_load_dword v23, off, s[44:47], 0 offset:304
	buffer_store_dword v249, off, s[44:47], 0 offset:300 ; 4-byte Folded Spill
	buffer_store_dword v250, off, s[44:47], 0 offset:304 ; 4-byte Folded Spill
	;; [unrolled: 1-line block ×4, first 2 shown]
	v_add_f64 v[30:31], v[138:139], v[240:241]
	v_add_f64 v[248:249], v[138:139], v[174:175]
	v_mul_f64 v[250:251], v[189:190], s[6:7]
	v_mul_f64 v[240:241], v[140:141], s[12:13]
	buffer_store_dword v30, off, s[44:47], 0 offset:324 ; 4-byte Folded Spill
	buffer_store_dword v31, off, s[44:47], 0 offset:328 ; 4-byte Folded Spill
	v_add_f64 v[20:21], v[136:137], v[20:21]
	v_add_f64 v[242:243], v[136:137], v[242:243]
	;; [unrolled: 1-line block ×3, first 2 shown]
	buffer_store_dword v20, off, s[44:47], 0 offset:316 ; 4-byte Folded Spill
	buffer_store_dword v21, off, s[44:47], 0 offset:320 ; 4-byte Folded Spill
	s_clause 0x1
	buffer_load_dword v20, off, s[44:47], 0 offset:136
	buffer_load_dword v21, off, s[44:47], 0 offset:140
	v_add_f64 v[246:247], v[136:137], v[246:247]
	v_mul_f64 v[136:137], v[189:190], s[12:13]
	v_fma_f64 v[30:31], v[160:161], s[2:3], v[250:251]
	s_waitcnt vmcnt(2)
	v_add_f64 v[22:23], v[138:139], v[22:23]
	v_add_f64 v[22:23], v[30:31], v[22:23]
	v_mul_f64 v[30:31], v[142:143], s[38:39]
	s_waitcnt vmcnt(0)
	v_add_f64 v[136:137], v[20:21], v[136:137]
	s_clause 0x3
	buffer_load_dword v20, off, s[44:47], 0 offset:120
	buffer_load_dword v21, off, s[44:47], 0 offset:124
	;; [unrolled: 1-line block ×4, first 2 shown]
	v_add_f64 v[26:27], v[136:137], v[26:27]
	v_mul_f64 v[136:137], v[217:218], s[24:25]
	s_waitcnt vmcnt(2)
	v_add_f64 v[240:241], v[240:241], -v[20:21]
	v_fma_f64 v[20:21], v[140:141], s[6:7], v[30:31]
	v_fma_f64 v[30:31], v[140:141], s[6:7], -v[30:31]
	v_add_f64 v[24:25], v[240:241], v[24:25]
	v_add_f64 v[20:21], v[20:21], v[242:243]
	v_add_f64 v[30:31], v[30:31], v[32:33]
	v_mul_f64 v[32:33], v[217:218], s[14:15]
	v_fma_f64 v[242:243], v[160:161], s[38:39], v[250:251]
	v_mul_f64 v[250:251], v[219:220], s[16:17]
	s_waitcnt vmcnt(0)
	v_add_f64 v[32:33], v[138:139], v[32:33]
	s_clause 0x1
	buffer_load_dword v138, off, s[44:47], 0 offset:128
	buffer_load_dword v139, off, s[44:47], 0 offset:132
	v_add_f64 v[242:243], v[242:243], v[248:249]
	v_mul_f64 v[248:249], v[144:145], s[14:15]
	v_add_f64 v[8:9], v[8:9], v[250:251]
	v_mul_f64 v[250:251], v[168:169], s[16:17]
	v_add_f64 v[26:27], v[32:33], v[26:27]
	v_mul_f64 v[32:33], v[207:208], s[22:23]
	v_add_f64 v[8:9], v[8:9], v[26:27]
	v_mul_f64 v[26:27], v[189:190], s[16:17]
	v_add_f64 v[12:13], v[12:13], v[32:33]
	v_mul_f64 v[32:33], v[146:147], s[22:23]
	v_add_f64 v[26:27], v[148:149], v[26:27]
	v_add_f64 v[32:33], v[32:33], -v[10:11]
	v_mul_f64 v[10:11], v[219:220], s[12:13]
	v_add_f64 v[26:27], v[26:27], v[34:35]
	v_mul_f64 v[34:35], v[215:216], s[16:17]
	s_waitcnt vmcnt(0)
	v_add_f64 v[248:249], v[248:249], -v[138:139]
	s_clause 0x5
	buffer_load_dword v138, off, s[44:47], 0 offset:208
	buffer_load_dword v139, off, s[44:47], 0 offset:212
	;; [unrolled: 1-line block ×6, first 2 shown]
	v_add_f64 v[24:25], v[248:249], v[24:25]
	s_waitcnt vmcnt(4)
	v_add_f64 v[250:251], v[250:251], -v[138:139]
	v_mul_f64 v[138:139], v[215:216], s[24:25]
	v_add_f64 v[24:25], v[250:251], v[24:25]
	v_add_f64 v[16:17], v[16:17], v[138:139]
	v_fma_f64 v[138:139], v[205:206], s[36:37], v[136:137]
	v_fma_f64 v[136:137], v[205:206], s[34:35], v[136:137]
	v_add_f64 v[8:9], v[16:17], v[8:9]
	v_add_f64 v[22:23], v[138:139], v[22:23]
	v_mul_f64 v[138:139], v[162:163], s[34:35]
	v_add_f64 v[136:137], v[136:137], v[242:243]
	v_fma_f64 v[240:241], v[144:145], s[24:25], v[138:139]
	v_fma_f64 v[138:139], v[144:145], s[24:25], -v[138:139]
	v_add_f64 v[20:21], v[240:241], v[20:21]
	v_add_f64 v[30:31], v[138:139], v[30:31]
	v_mul_f64 v[138:139], v[156:157], s[24:25]
	s_waitcnt vmcnt(2)
	v_add_f64 v[138:139], v[138:139], -v[174:175]
	v_fma_f64 v[174:175], v[213:214], s[0:1], v[10:11]
	v_fma_f64 v[10:11], v[213:214], s[42:43], v[10:11]
	v_add_f64 v[16:17], v[138:139], v[24:25]
	v_add_f64 v[22:23], v[174:175], v[22:23]
	v_mul_f64 v[174:175], v[211:212], s[42:43]
	v_add_f64 v[10:11], v[10:11], v[136:137]
	v_mul_f64 v[138:139], v[162:163], s[0:1]
	v_mul_f64 v[162:163], v[162:163], s[38:39]
	v_fma_f64 v[136:137], v[168:169], s[12:13], -v[174:175]
	v_fma_f64 v[240:241], v[168:169], s[12:13], v[174:175]
	v_mul_f64 v[174:175], v[211:212], s[20:21]
	v_add_f64 v[30:31], v[136:137], v[30:31]
	v_mul_f64 v[136:137], v[140:141], s[16:17]
	v_add_f64 v[20:21], v[240:241], v[20:21]
	s_waitcnt vmcnt(0)
	v_add_f64 v[136:137], v[136:137], -v[148:149]
	v_mul_f64 v[148:149], v[217:218], s[22:23]
	v_add_f64 v[28:29], v[136:137], v[28:29]
	v_add_f64 v[148:149], v[150:151], v[148:149]
	v_mul_f64 v[150:151], v[144:145], s[22:23]
	v_fma_f64 v[136:137], v[203:204], s[30:31], v[34:35]
	v_fma_f64 v[34:35], v[203:204], s[18:19], v[34:35]
	v_add_f64 v[26:27], v[148:149], v[26:27]
	v_add_f64 v[150:151], v[150:151], -v[172:173]
	v_mul_f64 v[172:173], v[219:220], s[24:25]
	v_add_f64 v[22:23], v[136:137], v[22:23]
	v_mul_f64 v[136:137], v[209:210], s[18:19]
	v_mul_f64 v[148:149], v[156:157], s[14:15]
	v_add_f64 v[10:11], v[34:35], v[10:11]
	v_mul_f64 v[34:35], v[215:216], s[14:15]
	v_add_f64 v[28:29], v[150:151], v[28:29]
	v_add_f64 v[6:7], v[6:7], v[172:173]
	v_mul_f64 v[172:173], v[168:169], s[24:25]
	v_add_f64 v[6:7], v[6:7], v[26:27]
	v_add_f64 v[0:1], v[172:173], -v[0:1]
	v_fma_f64 v[172:173], v[156:157], s[16:17], v[136:137]
	v_mul_f64 v[26:27], v[207:208], s[6:7]
	v_fma_f64 v[136:137], v[156:157], s[16:17], -v[136:137]
	v_add_f64 v[0:1], v[0:1], v[28:29]
	v_add_f64 v[20:21], v[172:173], v[20:21]
	s_clause 0x5
	buffer_load_dword v172, off, s[44:47], 0 offset:240
	buffer_load_dword v173, off, s[44:47], 0 offset:244
	;; [unrolled: 1-line block ×6, first 2 shown]
	v_add_f64 v[26:27], v[2:3], v[26:27]
	v_mul_f64 v[2:3], v[146:147], s[6:7]
	v_add_f64 v[30:31], v[136:137], v[30:31]
	s_waitcnt vmcnt(4)
	v_add_f64 v[34:35], v[172:173], v[34:35]
	s_waitcnt vmcnt(2)
	v_add_f64 v[148:149], v[148:149], -v[150:151]
	s_clause 0x3
	buffer_load_dword v150, off, s[44:47], 0 offset:160
	buffer_load_dword v151, off, s[44:47], 0 offset:164
	;; [unrolled: 1-line block ×4, first 2 shown]
	s_waitcnt vmcnt(4)
	v_add_f64 v[28:29], v[2:3], -v[28:29]
	v_mul_f64 v[2:3], v[189:190], s[22:23]
	v_add_f64 v[24:25], v[34:35], v[6:7]
	v_mul_f64 v[34:35], v[217:218], s[12:13]
	v_add_f64 v[148:149], v[148:149], v[0:1]
	v_add_f64 v[2:3], v[4:5], v[2:3]
	;; [unrolled: 1-line block ×4, first 2 shown]
	v_mul_f64 v[18:19], v[140:141], s[22:23]
	v_fma_f64 v[136:137], v[205:206], s[42:43], v[34:35]
	v_fma_f64 v[34:35], v[205:206], s[0:1], v[34:35]
	v_add_f64 v[2:3], v[2:3], v[38:39]
	v_mul_f64 v[38:39], v[144:145], s[16:17]
	v_add_f64 v[14:15], v[14:15], v[181:182]
	v_add_f64 v[4:5], v[4:5], v[187:188]
	v_mul_f64 v[187:188], v[215:216], s[22:23]
	v_add_f64 v[14:15], v[14:15], v[191:192]
	v_add_f64 v[4:5], v[4:5], v[193:194]
	v_mul_f64 v[193:194], v[207:208], s[12:13]
	v_mul_f64 v[191:192], v[207:208], s[16:17]
	v_add_f64 v[14:15], v[14:15], v[195:196]
	v_add_f64 v[4:5], v[4:5], v[199:200]
	;; [unrolled: 1-line block ×8, first 2 shown]
	v_mul_f64 v[183:184], v[215:216], s[6:7]
	v_add_f64 v[14:15], v[14:15], v[152:153]
	v_add_f64 v[4:5], v[4:5], v[154:155]
	v_mul_f64 v[154:155], v[142:143], s[28:29]
	v_mul_f64 v[142:143], v[142:143], s[36:37]
	v_add_f64 v[14:15], v[14:15], v[164:165]
	v_mul_f64 v[164:165], v[217:218], s[6:7]
	v_fma_f64 v[6:7], v[140:141], s[14:15], -v[154:155]
	v_add_f64 v[4:5], v[4:5], v[166:167]
	v_mul_f64 v[166:167], v[219:220], s[14:15]
	v_add_f64 v[6:7], v[6:7], v[238:239]
	s_waitcnt vmcnt(2)
	v_add_f64 v[18:19], v[18:19], -v[150:151]
	v_mul_f64 v[150:151], v[217:218], s[16:17]
	v_add_f64 v[18:19], v[18:19], v[36:37]
	s_waitcnt vmcnt(0)
	v_add_f64 v[150:151], v[172:173], v[150:151]
	s_clause 0x1
	buffer_load_dword v172, off, s[44:47], 0 offset:168
	buffer_load_dword v173, off, s[44:47], 0 offset:172
	v_mul_f64 v[36:37], v[219:220], s[6:7]
	v_add_f64 v[2:3], v[150:151], v[2:3]
	v_mul_f64 v[150:151], v[168:169], s[6:7]
	s_waitcnt vmcnt(0)
	v_add_f64 v[38:39], v[38:39], -v[172:173]
	s_clause 0x1
	buffer_load_dword v172, off, s[44:47], 0 offset:184
	buffer_load_dword v173, off, s[44:47], 0 offset:188
	v_add_f64 v[18:19], v[38:39], v[18:19]
	v_mul_f64 v[38:39], v[215:216], s[12:13]
	s_waitcnt vmcnt(0)
	v_add_f64 v[36:37], v[172:173], v[36:37]
	s_clause 0x1
	buffer_load_dword v172, off, s[44:47], 0 offset:152
	buffer_load_dword v173, off, s[44:47], 0 offset:156
	v_add_f64 v[2:3], v[36:37], v[2:3]
	v_mul_f64 v[36:37], v[156:157], s[12:13]
	s_waitcnt vmcnt(0)
	v_add_f64 v[150:151], v[150:151], -v[172:173]
	s_clause 0x3
	buffer_load_dword v172, off, s[44:47], 0 offset:176
	buffer_load_dword v173, off, s[44:47], 0 offset:180
	;; [unrolled: 1-line block ×4, first 2 shown]
	v_add_f64 v[18:19], v[150:151], v[18:19]
	v_mul_f64 v[150:151], v[189:190], s[14:15]
	v_fma_f64 v[152:153], v[160:161], s[20:21], v[150:151]
	v_fma_f64 v[150:151], v[160:161], s[28:29], v[150:151]
	v_add_f64 v[152:153], v[152:153], v[234:235]
	v_add_f64 v[150:151], v[150:151], v[236:237]
	s_clause 0x4
	buffer_load_dword v236, off, s[44:47], 0 offset:248
	buffer_load_dword v237, off, s[44:47], 0 offset:252
	;; [unrolled: 1-line block ×5, first 2 shown]
	v_add_f64 v[136:137], v[136:137], v[152:153]
	v_fma_f64 v[152:153], v[144:145], s[12:13], v[138:139]
	v_add_f64 v[34:35], v[34:35], v[150:151]
	v_fma_f64 v[138:139], v[144:145], s[12:13], -v[138:139]
	v_mul_f64 v[150:151], v[219:220], s[22:23]
	v_add_f64 v[6:7], v[138:139], v[6:7]
	v_fma_f64 v[138:139], v[213:214], s[26:27], v[150:151]
	v_fma_f64 v[150:151], v[213:214], s[40:41], v[150:151]
	v_add_f64 v[136:137], v[138:139], v[136:137]
	v_add_f64 v[34:35], v[150:151], v[34:35]
	v_fma_f64 v[150:151], v[203:204], s[2:3], v[183:184]
	v_fma_f64 v[183:184], v[203:204], s[38:39], v[183:184]
	v_add_f64 v[136:137], v[150:151], v[136:137]
	v_add_f64 v[34:35], v[183:184], v[34:35]
	s_waitcnt vmcnt(7)
	v_add_f64 v[38:39], v[172:173], v[38:39]
	s_waitcnt vmcnt(5)
	v_add_f64 v[36:37], v[36:37], -v[170:171]
	v_fma_f64 v[170:171], v[140:141], s[14:15], v[154:155]
	v_mul_f64 v[154:155], v[189:190], s[24:25]
	v_fma_f64 v[172:173], v[144:145], s[6:7], -v[162:163]
	v_mul_f64 v[189:190], v[209:210], s[40:41]
	v_fma_f64 v[144:145], v[144:145], s[6:7], v[162:163]
	v_mul_f64 v[162:163], v[185:186], s[28:29]
	v_add_f64 v[38:39], v[38:39], v[2:3]
	v_add_f64 v[36:37], v[36:37], v[18:19]
	;; [unrolled: 1-line block ×3, first 2 shown]
	v_fma_f64 v[138:139], v[160:161], s[36:37], v[154:155]
	v_fma_f64 v[154:155], v[160:161], s[34:35], v[154:155]
	v_fma_f64 v[160:161], v[140:141], s[24:25], -v[142:143]
	v_fma_f64 v[140:141], v[140:141], s[24:25], v[142:143]
	v_mul_f64 v[142:143], v[211:212], s[40:41]
	v_fma_f64 v[0:1], v[156:157], s[22:23], v[189:190]
	v_add_f64 v[152:153], v[152:153], v[170:171]
	s_clause 0x1
	buffer_load_dword v170, off, s[44:47], 0 offset:308
	buffer_load_dword v171, off, s[44:47], 0 offset:312
	v_add_f64 v[160:161], v[160:161], v[246:247]
	v_mov_b32_e32 v248, v228
	v_mov_b32_e32 v247, v227
	;; [unrolled: 1-line block ×8, first 2 shown]
	s_clause 0x3
	buffer_load_dword v179, off, s[44:47], 0 offset:324
	buffer_load_dword v180, off, s[44:47], 0 offset:328
	;; [unrolled: 1-line block ×4, first 2 shown]
	v_mul_f64 v[177:178], v[207:208], s[14:15]
	v_add_f64 v[160:161], v[172:173], v[160:161]
	v_fma_f64 v[172:173], v[168:169], s[14:15], -v[174:175]
	v_add_f64 v[160:161], v[172:173], v[160:161]
	v_fma_f64 v[172:173], v[203:204], s[26:27], v[187:188]
	s_waitcnt vmcnt(4)
	v_add_f64 v[138:139], v[138:139], v[170:171]
	v_fma_f64 v[170:171], v[205:206], s[38:39], v[164:165]
	v_fma_f64 v[164:165], v[205:206], s[2:3], v[164:165]
	s_waitcnt vmcnt(2)
	v_add_f64 v[154:155], v[154:155], v[179:180]
	v_fma_f64 v[179:180], v[168:169], s[22:23], v[142:143]
	s_waitcnt vmcnt(0)
	v_add_f64 v[140:141], v[140:141], v[181:182]
	v_fma_f64 v[181:182], v[213:214], s[28:29], v[166:167]
	v_fma_f64 v[166:167], v[213:214], s[20:21], v[166:167]
	v_fma_f64 v[142:143], v[168:169], s[22:23], -v[142:143]
	v_fma_f64 v[168:169], v[168:169], s[14:15], v[174:175]
	v_mul_f64 v[174:175], v[207:208], s[24:25]
	v_add_f64 v[138:139], v[170:171], v[138:139]
	v_mul_f64 v[170:171], v[209:210], s[38:39]
	v_add_f64 v[154:155], v[164:165], v[154:155]
	v_fma_f64 v[164:165], v[158:159], s[20:21], v[177:178]
	v_add_f64 v[140:141], v[144:145], v[140:141]
	v_mul_f64 v[144:145], v[146:147], s[24:25]
	v_add_f64 v[152:153], v[179:180], v[152:153]
	v_add_f64 v[6:7], v[142:143], v[6:7]
	v_fma_f64 v[177:178], v[158:159], s[28:29], v[177:178]
	v_fma_f64 v[179:180], v[146:147], s[14:15], v[162:163]
	v_fma_f64 v[162:163], v[146:147], s[14:15], -v[162:163]
	v_add_f64 v[138:139], v[166:167], v[138:139]
	v_fma_f64 v[142:143], v[156:157], s[6:7], v[170:171]
	v_fma_f64 v[166:167], v[203:204], s[40:41], v[187:188]
	v_fma_f64 v[187:188], v[156:157], s[22:23], -v[189:190]
	v_fma_f64 v[170:171], v[156:157], s[6:7], -v[170:171]
	s_clause 0x3
	buffer_load_dword v156, off, s[44:47], 0 offset:112
	buffer_load_dword v157, off, s[44:47], 0 offset:116
	;; [unrolled: 1-line block ×4, first 2 shown]
	v_add_f64 v[154:155], v[181:182], v[154:155]
	v_mul_f64 v[181:182], v[185:186], s[42:43]
	v_add_f64 v[140:141], v[168:169], v[140:141]
	v_mul_f64 v[185:186], v[185:186], s[18:19]
	v_add_f64 v[142:143], v[142:143], v[152:153]
	v_add_f64 v[138:139], v[166:167], v[138:139]
	;; [unrolled: 1-line block ×7, first 2 shown]
	v_fma_f64 v[170:171], v[158:159], s[42:43], v[193:194]
	v_fma_f64 v[166:167], v[158:159], s[18:19], v[191:192]
	;; [unrolled: 1-line block ×3, first 2 shown]
	v_fma_f64 v[183:184], v[146:147], s[12:13], -v[181:182]
	v_add_f64 v[154:155], v[172:173], v[154:155]
	v_fma_f64 v[187:188], v[146:147], s[16:17], -v[185:186]
	v_fma_f64 v[172:173], v[146:147], s[16:17], v[185:186]
	v_fma_f64 v[158:159], v[158:159], s[0:1], v[193:194]
	;; [unrolled: 1-line block ×3, first 2 shown]
	v_add_f64 v[140:141], v[0:1], v[140:141]
	v_add_f64 v[0:1], v[179:180], v[20:21]
	;; [unrolled: 1-line block ×5, first 2 shown]
	s_waitcnt vmcnt(2)
	v_add_f64 v[156:157], v[156:157], v[174:175]
	s_waitcnt vmcnt(0)
	v_add_f64 v[144:145], v[144:145], -v[2:3]
	s_clause 0x1
	buffer_load_dword v2, off, s[44:47], 0 offset:268
	buffer_load_dword v3, off, s[44:47], 0 offset:272
	v_add_f64 v[18:19], v[156:157], v[38:39]
	v_add_f64 v[38:39], v[158:159], v[154:155]
	s_waitcnt vmcnt(0)
	v_add_f64 v[168:169], v[4:5], v[2:3]
	s_clause 0x3
	buffer_load_dword v2, off, s[44:47], 0 offset:300
	buffer_load_dword v3, off, s[44:47], 0 offset:304
	;; [unrolled: 1-line block ×4, first 2 shown]
	v_add_f64 v[4:5], v[162:163], v[30:31]
	v_add_f64 v[30:31], v[170:171], v[138:139]
	s_waitcnt vmcnt(2)
	v_add_f64 v[174:175], v[14:15], v[2:3]
	v_add_f64 v[2:3], v[164:165], v[22:23]
	s_waitcnt vmcnt(0)
	v_add_f64 v[22:23], v[168:169], v[16:17]
	s_clause 0x1
	buffer_load_dword v16, off, s[44:47], 0 offset:276
	buffer_load_dword v17, off, s[44:47], 0 offset:280
	v_add_f64 v[14:15], v[26:27], v[24:25]
	v_add_f64 v[26:27], v[166:167], v[34:35]
	;; [unrolled: 1-line block ×4, first 2 shown]
	s_waitcnt vmcnt(0)
	v_add_f64 v[20:21], v[174:175], v[16:17]
	v_add_f64 v[16:17], v[144:145], v[36:37]
	;; [unrolled: 1-line block ×3, first 2 shown]
	ds_write_b128 v255, v[20:23]
	ds_write_b128 v255, v[8:11] offset:1600
	ds_write_b128 v255, v[12:15] offset:3200
	ds_write_b128 v255, v[16:19] offset:4800
	ds_write_b128 v255, v[28:31] offset:6400
	ds_write_b128 v255, v[24:27] offset:8000
	ds_write_b128 v255, v[4:7] offset:9600
	ds_write_b128 v255, v[0:3] offset:11200
	ds_write_b128 v255, v[32:35] offset:12800
	ds_write_b128 v255, v[36:39] offset:14400
	ds_write_b128 v255, v[124:127] offset:16000
	ds_write_b128 v255, v[132:135] offset:17600
	ds_write_b128 v255, v[128:131] offset:19200
.LBB0_5:
	s_or_b32 exec_lo, exec_lo, s33
	v_add_co_u32 v0, s0, 0x5000, v176
	v_add_co_ci_u32_e64 v1, s0, 0, v231, s0
	v_add_co_u32 v4, s0, 0x5800, v176
	v_add_co_ci_u32_e64 v5, s0, 0, v231, s0
	v_add_co_u32 v8, s0, 0x6000, v176
	v_add_co_ci_u32_e64 v9, s0, 0, v231, s0
	v_add_co_u32 v12, s0, 0x6800, v176
	v_add_co_ci_u32_e64 v13, s0, 0, v231, s0
	v_add_co_u32 v16, s0, 0x7000, v176
	v_add_co_ci_u32_e64 v17, s0, 0, v231, s0
	v_add_co_u32 v20, s0, 0x7800, v176
	v_add_co_ci_u32_e64 v21, s0, 0, v231, s0
	v_add_co_u32 v24, s0, 0x8000, v176
	v_add_co_ci_u32_e64 v25, s0, 0, v231, s0
	v_add_co_u32 v28, s0, 0x8800, v176
	v_add_co_ci_u32_e64 v29, s0, 0, v231, s0
	s_waitcnt lgkmcnt(0)
	s_waitcnt_vscnt null, 0x0
	s_barrier
	buffer_gl0_inv
	s_clause 0x1
	global_load_dwordx4 v[0:3], v[0:1], off offset:320
	global_load_dwordx4 v[4:7], v[4:5], off offset:352
	v_add_co_u32 v32, s0, 0x9000, v176
	v_add_co_ci_u32_e64 v33, s0, 0, v231, s0
	v_add_co_u32 v36, s0, 0x9800, v176
	s_clause 0x4
	global_load_dwordx4 v[8:11], v[8:9], off offset:384
	global_load_dwordx4 v[12:15], v[12:13], off offset:416
	;; [unrolled: 1-line block ×5, first 2 shown]
	v_add_co_ci_u32_e64 v37, s0, 0, v231, s0
	s_clause 0x2
	global_load_dwordx4 v[28:31], v[28:29], off offset:544
	global_load_dwordx4 v[32:35], v[32:33], off offset:576
	;; [unrolled: 1-line block ×3, first 2 shown]
	ds_read_b128 v[136:139], v255
	ds_read_b128 v[140:143], v255 offset:2080
	ds_read_b128 v[144:147], v255 offset:4160
	;; [unrolled: 1-line block ×9, first 2 shown]
	s_mov_b32 s6, 0x134454ff
	s_mov_b32 s7, 0xbfee6f0e
	;; [unrolled: 1-line block ×16, first 2 shown]
	s_waitcnt vmcnt(9) lgkmcnt(9)
	v_mul_f64 v[176:177], v[138:139], v[2:3]
	v_mul_f64 v[2:3], v[136:137], v[2:3]
	s_waitcnt vmcnt(8) lgkmcnt(8)
	v_mul_f64 v[178:179], v[142:143], v[6:7]
	v_mul_f64 v[6:7], v[140:141], v[6:7]
	;; [unrolled: 3-line block ×10, first 2 shown]
	v_fma_f64 v[136:137], v[136:137], v[0:1], -v[176:177]
	v_fma_f64 v[138:139], v[138:139], v[0:1], v[2:3]
	v_fma_f64 v[0:1], v[140:141], v[4:5], -v[178:179]
	v_fma_f64 v[2:3], v[142:143], v[4:5], v[6:7]
	;; [unrolled: 2-line block ×10, first 2 shown]
	ds_write_b128 v255, v[136:139]
	ds_write_b128 v255, v[0:3] offset:2080
	ds_write_b128 v255, v[4:7] offset:4160
	;; [unrolled: 1-line block ×9, first 2 shown]
	s_waitcnt lgkmcnt(0)
	s_barrier
	buffer_gl0_inv
	ds_read_b128 v[0:3], v255 offset:6240
	ds_read_b128 v[4:7], v255 offset:10400
	ds_read_b128 v[8:11], v255 offset:14560
	ds_read_b128 v[12:15], v255 offset:18720
	ds_read_b128 v[16:19], v255 offset:4160
	ds_read_b128 v[20:23], v255 offset:8320
	ds_read_b128 v[24:27], v255 offset:12480
	ds_read_b128 v[28:31], v255 offset:16640
	ds_read_b128 v[32:35], v255
	ds_read_b128 v[36:39], v255 offset:2080
	s_waitcnt lgkmcnt(0)
	s_barrier
	buffer_gl0_inv
	v_add_f64 v[178:179], v[0:1], -v[4:5]
	v_add_f64 v[136:137], v[6:7], v[10:11]
	v_add_f64 v[138:139], v[2:3], v[14:15]
	;; [unrolled: 1-line block ×4, first 2 shown]
	v_add_f64 v[156:157], v[0:1], -v[12:13]
	v_add_f64 v[158:159], v[4:5], -v[8:9]
	v_add_f64 v[162:163], v[2:3], -v[14:15]
	v_add_f64 v[142:143], v[32:33], v[16:17]
	v_add_f64 v[144:145], v[20:21], v[24:25]
	;; [unrolled: 1-line block ×5, first 2 shown]
	v_add_f64 v[180:181], v[12:13], -v[8:9]
	v_add_f64 v[182:183], v[2:3], -v[6:7]
	;; [unrolled: 1-line block ×6, first 2 shown]
	v_add_f64 v[168:169], v[34:35], v[18:19]
	v_add_f64 v[2:3], v[38:39], v[2:3]
	v_add_f64 v[146:147], v[18:19], -v[30:31]
	v_add_f64 v[148:149], v[22:23], -v[26:27]
	v_fma_f64 v[136:137], v[136:137], -0.5, v[38:39]
	v_fma_f64 v[138:139], v[138:139], -0.5, v[38:39]
	;; [unrolled: 1-line block ×4, first 2 shown]
	v_add_f64 v[36:37], v[36:37], v[0:1]
	v_add_f64 v[150:151], v[16:17], -v[20:21]
	v_add_f64 v[152:153], v[28:29], -v[24:25]
	;; [unrolled: 1-line block ×8, first 2 shown]
	v_fma_f64 v[38:39], v[144:145], -0.5, v[32:33]
	v_add_f64 v[20:21], v[142:143], v[20:21]
	v_fma_f64 v[32:33], v[160:161], -0.5, v[32:33]
	v_fma_f64 v[142:143], v[170:171], -0.5, v[34:35]
	;; [unrolled: 1-line block ×3, first 2 shown]
	v_add_f64 v[144:145], v[178:179], v[180:181]
	v_add_f64 v[160:161], v[182:183], v[184:185]
	;; [unrolled: 1-line block ×3, first 2 shown]
	v_add_f64 v[174:175], v[18:19], -v[22:23]
	v_fma_f64 v[194:195], v[156:157], s[2:3], v[136:137]
	v_fma_f64 v[196:197], v[158:159], s[6:7], v[138:139]
	;; [unrolled: 1-line block ×8, first 2 shown]
	v_add_f64 v[18:19], v[22:23], -v[18:19]
	v_add_f64 v[22:23], v[168:169], v[22:23]
	v_add_f64 v[4:5], v[36:37], v[4:5]
	;; [unrolled: 1-line block ×3, first 2 shown]
	v_add_f64 v[192:193], v[30:31], -v[26:27]
	v_add_f64 v[150:151], v[150:151], v[152:153]
	v_add_f64 v[152:153], v[164:165], v[166:167]
	;; [unrolled: 1-line block ×3, first 2 shown]
	v_fma_f64 v[6:7], v[146:147], s[6:7], v[38:39]
	v_fma_f64 v[36:37], v[146:147], s[2:3], v[38:39]
	v_fma_f64 v[38:39], v[148:149], s[2:3], v[32:33]
	v_fma_f64 v[32:33], v[148:149], s[6:7], v[32:33]
	v_fma_f64 v[164:165], v[172:173], s[6:7], v[34:35]
	v_fma_f64 v[34:35], v[172:173], s[2:3], v[34:35]
	v_fma_f64 v[178:179], v[158:159], s[14:15], v[194:195]
	v_fma_f64 v[180:181], v[156:157], s[14:15], v[196:197]
	v_fma_f64 v[138:139], v[156:157], s[12:13], v[138:139]
	v_fma_f64 v[156:157], v[190:191], s[12:13], v[198:199]
	v_fma_f64 v[136:137], v[158:159], s[12:13], v[136:137]
	v_fma_f64 v[158:159], v[16:17], s[2:3], v[142:143]
	v_fma_f64 v[142:143], v[16:17], s[6:7], v[142:143]
	v_fma_f64 v[140:141], v[190:191], s[14:15], v[140:141]
	v_fma_f64 v[166:167], v[162:163], s[12:13], v[176:177]
	v_fma_f64 v[154:155], v[162:163], s[14:15], v[154:155]
	v_add_f64 v[200:201], v[26:27], -v[30:31]
	v_add_f64 v[20:21], v[20:21], v[24:25]
	v_add_f64 v[22:23], v[22:23], v[26:27]
	;; [unrolled: 1-line block ×4, first 2 shown]
	v_fma_f64 v[6:7], v[148:149], s[12:13], v[6:7]
	v_fma_f64 v[8:9], v[148:149], s[14:15], v[36:37]
	;; [unrolled: 1-line block ×11, first 2 shown]
	v_add_f64 v[160:161], v[174:175], v[192:193]
	v_fma_f64 v[26:27], v[172:173], s[14:15], v[158:159]
	v_fma_f64 v[32:33], v[172:173], s[12:13], v[142:143]
	;; [unrolled: 1-line block ×4, first 2 shown]
	v_add_f64 v[18:19], v[18:19], v[200:201]
	v_fma_f64 v[0:1], v[0:1], s[0:1], v[154:155]
	v_add_f64 v[20:21], v[20:21], v[28:29]
	v_add_f64 v[22:23], v[22:23], v[30:31]
	;; [unrolled: 1-line block ×4, first 2 shown]
	v_fma_f64 v[28:29], v[150:151], s[0:1], v[6:7]
	v_fma_f64 v[30:31], v[150:151], s[0:1], v[8:9]
	;; [unrolled: 1-line block ×4, first 2 shown]
	v_mul_f64 v[140:141], v[162:163], s[12:13]
	v_mul_f64 v[142:143], v[168:169], s[6:7]
	v_mul_f64 v[154:155], v[168:169], s[0:1]
	v_mul_f64 v[148:149], v[156:157], s[14:15]
	v_mul_f64 v[144:145], v[138:139], s[6:7]
	v_mul_f64 v[138:139], v[138:139], s[18:19]
	v_mul_f64 v[146:147], v[136:137], s[12:13]
	v_mul_f64 v[136:137], v[136:137], s[20:21]
	v_fma_f64 v[26:27], v[160:161], s[0:1], v[26:27]
	v_fma_f64 v[158:159], v[160:161], s[0:1], v[32:33]
	;; [unrolled: 1-line block ×4, first 2 shown]
	v_add_f64 v[2:3], v[22:23], v[12:13]
	v_add_f64 v[6:7], v[22:23], -v[12:13]
	v_fma_f64 v[24:25], v[156:157], s[16:17], v[140:141]
	v_fma_f64 v[32:33], v[38:39], s[0:1], v[142:143]
	;; [unrolled: 1-line block ×8, first 2 shown]
	v_add_f64 v[0:1], v[20:21], v[4:5]
	v_add_f64 v[4:5], v[20:21], -v[4:5]
	v_add_f64 v[8:9], v[28:29], v[24:25]
	v_add_f64 v[12:13], v[150:151], v[32:33]
	;; [unrolled: 1-line block ×8, first 2 shown]
	v_add_f64 v[24:25], v[28:29], -v[24:25]
	v_add_f64 v[26:27], v[26:27], -v[142:143]
	;; [unrolled: 1-line block ×8, first 2 shown]
	ds_write_b128 v232, v[0:3]
	ds_write_b128 v232, v[4:7] offset:80
	ds_write_b128 v232, v[8:11] offset:16
	;; [unrolled: 1-line block ×9, first 2 shown]
	s_waitcnt lgkmcnt(0)
	s_barrier
	buffer_gl0_inv
	ds_read_b128 v[0:3], v255 offset:6240
	ds_read_b128 v[4:7], v255 offset:10400
	;; [unrolled: 1-line block ×9, first 2 shown]
	s_waitcnt lgkmcnt(8)
	v_mul_f64 v[36:37], v[54:55], v[0:1]
	s_waitcnt lgkmcnt(7)
	v_mul_f64 v[38:39], v[50:51], v[4:5]
	;; [unrolled: 2-line block ×5, first 2 shown]
	v_mul_f64 v[54:55], v[54:55], v[2:3]
	v_mul_f64 v[50:51], v[50:51], v[6:7]
	;; [unrolled: 1-line block ×4, first 2 shown]
	s_waitcnt lgkmcnt(3)
	v_mul_f64 v[142:143], v[74:75], v[22:23]
	v_mul_f64 v[74:75], v[74:75], v[20:21]
	s_waitcnt lgkmcnt(2)
	v_mul_f64 v[144:145], v[70:71], v[26:27]
	v_mul_f64 v[70:71], v[70:71], v[24:25]
	s_waitcnt lgkmcnt(1)
	v_mul_f64 v[146:147], v[66:67], v[30:31]
	s_waitcnt lgkmcnt(0)
	v_mul_f64 v[148:149], v[62:63], v[32:33]
	v_mul_f64 v[66:67], v[66:67], v[28:29]
	;; [unrolled: 1-line block ×4, first 2 shown]
	v_fma_f64 v[2:3], v[52:53], v[2:3], -v[36:37]
	v_fma_f64 v[6:7], v[48:49], v[6:7], -v[38:39]
	;; [unrolled: 1-line block ×5, first 2 shown]
	v_fma_f64 v[0:1], v[52:53], v[0:1], v[54:55]
	v_fma_f64 v[4:5], v[48:49], v[4:5], v[50:51]
	;; [unrolled: 1-line block ×5, first 2 shown]
	v_fma_f64 v[22:23], v[72:73], v[22:23], -v[74:75]
	v_fma_f64 v[24:25], v[68:69], v[24:25], v[144:145]
	v_fma_f64 v[26:27], v[68:69], v[26:27], -v[70:71]
	v_fma_f64 v[28:29], v[64:65], v[28:29], v[146:147]
	v_fma_f64 v[34:35], v[60:61], v[34:35], -v[148:149]
	v_fma_f64 v[30:31], v[64:65], v[30:31], -v[66:67]
	v_fma_f64 v[32:33], v[60:61], v[32:33], v[62:63]
	v_fma_f64 v[16:17], v[40:41], v[16:17], v[42:43]
	ds_read_b128 v[36:39], v255
	s_waitcnt lgkmcnt(0)
	s_barrier
	buffer_gl0_inv
	v_add_f64 v[144:145], v[2:3], -v[6:7]
	v_add_f64 v[44:45], v[6:7], v[10:11]
	v_add_f64 v[46:47], v[2:3], v[14:15]
	v_add_f64 v[142:143], v[2:3], -v[14:15]
	v_add_f64 v[146:147], v[14:15], -v[10:11]
	;; [unrolled: 1-line block ×3, first 2 shown]
	v_add_f64 v[56:57], v[4:5], v[8:9]
	v_add_f64 v[58:59], v[0:1], v[12:13]
	v_add_f64 v[60:61], v[0:1], -v[12:13]
	v_add_f64 v[62:63], v[4:5], -v[8:9]
	;; [unrolled: 1-line block ×4, first 2 shown]
	v_add_f64 v[42:43], v[24:25], v[28:29]
	v_add_f64 v[140:141], v[22:23], v[34:35]
	;; [unrolled: 1-line block ×4, first 2 shown]
	v_add_f64 v[54:55], v[32:33], -v[28:29]
	v_add_f64 v[64:65], v[20:21], v[32:33]
	v_add_f64 v[152:153], v[6:7], -v[10:11]
	v_add_f64 v[48:49], v[22:23], -v[34:35]
	;; [unrolled: 1-line block ×5, first 2 shown]
	v_fma_f64 v[44:45], v[44:45], -0.5, v[18:19]
	v_fma_f64 v[46:47], v[46:47], -0.5, v[18:19]
	v_add_f64 v[70:71], v[38:39], v[22:23]
	v_add_f64 v[20:21], v[20:21], -v[32:33]
	v_add_f64 v[74:75], v[24:25], -v[28:29]
	v_fma_f64 v[56:57], v[56:57], -0.5, v[16:17]
	v_fma_f64 v[58:59], v[58:59], -0.5, v[16:17]
	v_add_f64 v[16:17], v[16:17], v[0:1]
	v_add_f64 v[160:161], v[0:1], -v[4:5]
	v_add_f64 v[162:163], v[12:13], -v[8:9]
	;; [unrolled: 1-line block ×4, first 2 shown]
	v_add_f64 v[2:3], v[18:19], v[2:3]
	v_fma_f64 v[18:19], v[42:43], -0.5, v[36:37]
	v_add_f64 v[24:25], v[40:41], v[24:25]
	v_add_f64 v[40:41], v[52:53], v[54:55]
	v_fma_f64 v[36:37], v[64:65], -0.5, v[36:37]
	v_fma_f64 v[42:43], v[72:73], -0.5, v[38:39]
	;; [unrolled: 1-line block ×3, first 2 shown]
	v_add_f64 v[52:53], v[144:145], v[146:147]
	v_add_f64 v[54:55], v[148:149], v[150:151]
	v_add_f64 v[136:137], v[22:23], -v[26:27]
	v_fma_f64 v[156:157], v[60:61], s[2:3], v[44:45]
	v_fma_f64 v[158:159], v[62:63], s[6:7], v[46:47]
	;; [unrolled: 1-line block ×4, first 2 shown]
	v_add_f64 v[138:139], v[34:35], -v[30:31]
	v_fma_f64 v[64:65], v[142:143], s[6:7], v[56:57]
	v_fma_f64 v[56:57], v[142:143], s[2:3], v[56:57]
	;; [unrolled: 1-line block ×4, first 2 shown]
	v_add_f64 v[22:23], v[26:27], -v[22:23]
	v_add_f64 v[154:155], v[30:31], -v[34:35]
	v_add_f64 v[26:27], v[70:71], v[26:27]
	v_add_f64 v[4:5], v[16:17], v[4:5]
	;; [unrolled: 1-line block ×5, first 2 shown]
	v_fma_f64 v[6:7], v[48:49], s[6:7], v[18:19]
	v_fma_f64 v[18:19], v[48:49], s[2:3], v[18:19]
	v_add_f64 v[24:25], v[24:25], v[28:29]
	v_fma_f64 v[140:141], v[62:63], s[14:15], v[156:157]
	v_fma_f64 v[144:145], v[60:61], s[14:15], v[158:159]
	;; [unrolled: 1-line block ×4, first 2 shown]
	v_add_f64 v[60:61], v[66:67], v[68:69]
	v_fma_f64 v[62:63], v[50:51], s[2:3], v[36:37]
	v_fma_f64 v[36:37], v[50:51], s[6:7], v[36:37]
	;; [unrolled: 1-line block ×10, first 2 shown]
	v_add_f64 v[22:23], v[22:23], v[154:155]
	v_add_f64 v[26:27], v[26:27], v[30:31]
	;; [unrolled: 1-line block ×4, first 2 shown]
	v_fma_f64 v[6:7], v[50:51], s[12:13], v[6:7]
	v_fma_f64 v[8:9], v[50:51], s[14:15], v[18:19]
	v_add_f64 v[24:25], v[24:25], v[32:33]
	v_fma_f64 v[72:73], v[52:53], s[0:1], v[140:141]
	v_fma_f64 v[140:141], v[54:55], s[0:1], v[144:145]
	;; [unrolled: 1-line block ×4, first 2 shown]
	v_add_f64 v[52:53], v[136:137], v[138:139]
	v_fma_f64 v[10:11], v[48:49], s[12:13], v[62:63]
	v_fma_f64 v[18:19], v[48:49], s[14:15], v[36:37]
	;; [unrolled: 1-line block ×10, first 2 shown]
	v_add_f64 v[26:27], v[26:27], v[34:35]
	v_add_f64 v[4:5], v[4:5], v[12:13]
	v_add_f64 v[2:3], v[2:3], v[14:15]
	v_fma_f64 v[6:7], v[40:41], s[0:1], v[6:7]
	v_fma_f64 v[8:9], v[40:41], s[0:1], v[8:9]
	v_mul_f64 v[48:49], v[72:73], s[12:13]
	v_mul_f64 v[50:51], v[140:141], s[6:7]
	;; [unrolled: 1-line block ×8, first 2 shown]
	v_fma_f64 v[10:11], v[60:61], s[0:1], v[10:11]
	v_fma_f64 v[12:13], v[60:61], s[0:1], v[18:19]
	;; [unrolled: 1-line block ×6, first 2 shown]
	v_add_f64 v[40:41], v[24:25], v[4:5]
	v_fma_f64 v[22:23], v[38:39], s[16:17], v[48:49]
	v_fma_f64 v[30:31], v[42:43], s[0:1], v[50:51]
	;; [unrolled: 1-line block ×8, first 2 shown]
	v_add_f64 v[42:43], v[26:27], v[2:3]
	v_add_f64 v[44:45], v[24:25], -v[4:5]
	v_add_f64 v[46:47], v[26:27], -v[2:3]
	v_add_f64 v[136:137], v[6:7], v[22:23]
	v_add_f64 v[72:73], v[10:11], v[30:31]
	;; [unrolled: 1-line block ×8, first 2 shown]
	v_add_f64 v[48:49], v[6:7], -v[22:23]
	v_add_f64 v[52:53], v[10:11], -v[30:31]
	;; [unrolled: 1-line block ×8, first 2 shown]
	ds_write_b128 v233, v[40:43]
	ds_write_b128 v233, v[44:47] offset:800
	ds_write_b128 v233, v[136:139] offset:160
	;; [unrolled: 1-line block ×9, first 2 shown]
	s_waitcnt lgkmcnt(0)
	s_barrier
	buffer_gl0_inv
	s_and_saveexec_b32 s0, vcc_lo
	s_cbranch_execz .LBB0_7
; %bb.6:
	ds_read_b128 v[40:43], v255
	ds_read_b128 v[136:139], v255 offset:1600
	ds_read_b128 v[72:75], v255 offset:3200
	;; [unrolled: 1-line block ×12, first 2 shown]
.LBB0_7:
	s_or_b32 exec_lo, exec_lo, s0
	s_and_saveexec_b32 s33, vcc_lo
	s_cbranch_execz .LBB0_9
; %bb.8:
	s_waitcnt lgkmcnt(11)
	v_mul_f64 v[0:1], v[78:79], v[138:139]
	s_waitcnt lgkmcnt(0)
	v_mul_f64 v[2:3], v[94:95], v[130:131]
	v_mul_f64 v[4:5], v[78:79], v[136:137]
	;; [unrolled: 1-line block ×9, first 2 shown]
	s_mov_b32 s20, 0x4bc48dbf
	s_mov_b32 s21, 0xbfcea1e5
	v_mul_f64 v[32:33], v[98:99], v[50:51]
	v_mul_f64 v[34:35], v[114:115], v[54:55]
	;; [unrolled: 1-line block ×3, first 2 shown]
	s_mov_b32 s14, 0x93053d00
	s_mov_b32 s27, 0x3fddbe06
	;; [unrolled: 1-line block ×4, first 2 shown]
	v_mul_f64 v[36:37], v[98:99], v[48:49]
	v_mul_f64 v[38:39], v[86:87], v[46:47]
	;; [unrolled: 1-line block ×3, first 2 shown]
	v_fma_f64 v[24:25], v[76:77], v[136:137], v[0:1]
	v_fma_f64 v[78:79], v[92:93], v[128:129], v[2:3]
	v_fma_f64 v[26:27], v[76:77], v[138:139], -v[4:5]
	v_fma_f64 v[76:77], v[92:93], v[130:131], -v[6:7]
	v_mul_f64 v[4:5], v[102:103], v[70:71]
	v_mul_f64 v[6:7], v[110:111], v[126:127]
	v_fma_f64 v[20:21], v[116:117], v[72:73], v[8:9]
	v_fma_f64 v[0:1], v[120:121], v[132:133], v[10:11]
	v_fma_f64 v[22:23], v[116:117], v[74:75], -v[12:13]
	v_fma_f64 v[2:3], v[120:121], v[134:135], -v[14:15]
	v_mul_f64 v[92:93], v[90:91], v[66:67]
	v_mul_f64 v[72:73], v[82:83], v[56:57]
	;; [unrolled: 1-line block ×5, first 2 shown]
	v_fma_f64 v[106:107], v[80:81], v[56:57], v[28:29]
	v_fma_f64 v[98:99], v[96:97], v[48:49], v[32:33]
	s_mov_b32 s24, 0x24c2f84
	s_mov_b32 s12, 0xe00740e9
	;; [unrolled: 1-line block ×4, first 2 shown]
	v_mul_f64 v[114:115], v[114:115], v[52:53]
	v_fma_f64 v[38:39], v[84:85], v[44:45], v[38:39]
	v_add_f64 v[8:9], v[24:25], -v[78:79]
	v_add_f64 v[10:11], v[24:25], v[78:79]
	v_add_f64 v[18:19], v[26:27], -v[76:77]
	v_fma_f64 v[30:31], v[100:101], v[68:69], v[4:5]
	v_fma_f64 v[4:5], v[108:109], v[124:125], v[6:7]
	v_fma_f64 v[68:69], v[100:101], v[70:71], -v[16:17]
	v_fma_f64 v[6:7], v[108:109], v[126:127], -v[94:95]
	v_add_f64 v[16:17], v[20:21], -v[0:1]
	v_add_f64 v[14:15], v[22:23], -v[2:3]
	v_add_f64 v[12:13], v[26:27], v[76:77]
	v_fma_f64 v[28:29], v[88:89], v[64:65], v[92:93]
	v_fma_f64 v[108:109], v[80:81], v[58:59], -v[72:73]
	v_fma_f64 v[56:57], v[88:89], v[66:67], -v[74:75]
	v_add_f64 v[72:73], v[22:23], v[2:3]
	v_add_f64 v[66:67], v[20:21], v[0:1]
	v_fma_f64 v[94:95], v[112:113], v[52:53], v[34:35]
	v_fma_f64 v[102:103], v[84:85], v[46:47], -v[86:87]
	v_fma_f64 v[74:75], v[104:105], v[62:63], -v[122:123]
	s_mov_b32 s6, 0x66966769
	s_mov_b32 s28, 0x42a4c3d2
	;; [unrolled: 1-line block ×4, first 2 shown]
	v_mul_f64 v[70:71], v[8:9], s[20:21]
	v_mul_f64 v[48:49], v[8:9], s[24:25]
	;; [unrolled: 1-line block ×4, first 2 shown]
	v_add_f64 v[90:91], v[30:31], -v[4:5]
	v_add_f64 v[58:59], v[30:31], v[4:5]
	v_add_f64 v[92:93], v[68:69], -v[6:7]
	v_mul_f64 v[64:65], v[16:17], s[26:27]
	v_mul_f64 v[80:81], v[14:15], s[26:27]
	v_add_f64 v[52:53], v[68:69], v[6:7]
	v_add_f64 v[84:85], v[106:107], -v[28:29]
	s_mov_b32 s29, 0x3fea55e2
	v_add_f64 v[86:87], v[108:109], -v[56:57]
	s_mov_b32 s17, 0xbfe7f3cc
	v_mul_f64 v[116:117], v[14:15], s[6:7]
	v_fma_f64 v[100:101], v[96:97], v[50:51], -v[36:37]
	v_fma_f64 v[36:37], v[112:113], v[54:55], -v[114:115]
	s_mov_b32 s0, 0xebaa3ed8
	s_mov_b32 s18, 0x2ef20147
	;; [unrolled: 1-line block ×5, first 2 shown]
	v_fma_f64 v[32:33], v[12:13], s[14:15], v[70:71]
	v_fma_f64 v[88:89], v[12:13], s[14:15], -v[70:71]
	v_fma_f64 v[34:35], v[10:11], s[14:15], -v[82:83]
	v_fma_f64 v[82:83], v[10:11], s[14:15], v[82:83]
	v_fma_f64 v[70:71], v[104:105], v[60:61], v[118:119]
	v_mul_f64 v[44:45], v[90:91], s[24:25]
	v_mul_f64 v[46:47], v[92:93], s[24:25]
	v_fma_f64 v[60:61], v[72:73], s[12:13], v[64:65]
	v_fma_f64 v[62:63], v[66:67], s[12:13], -v[80:81]
	v_fma_f64 v[64:65], v[72:73], s[12:13], -v[64:65]
	v_fma_f64 v[118:119], v[66:67], s[12:13], v[80:81]
	v_mul_f64 v[104:105], v[16:17], s[6:7]
	v_fma_f64 v[120:121], v[12:13], s[16:17], v[48:49]
	v_fma_f64 v[122:123], v[10:11], s[16:17], -v[110:111]
	v_mul_f64 v[50:51], v[84:85], s[28:29]
	v_mul_f64 v[54:55], v[86:87], s[28:29]
	s_mov_b32 s23, 0x3fe22d96
	s_mov_b32 s31, 0xbfea55e2
	s_mov_b32 s30, s28
	v_fma_f64 v[136:137], v[66:67], s[0:1], -v[116:117]
	v_mul_f64 v[112:113], v[90:91], s[30:31]
	v_mul_f64 v[114:115], v[92:93], s[30:31]
	v_add_f64 v[124:125], v[42:43], v[32:33]
	v_add_f64 v[88:89], v[42:43], v[88:89]
	;; [unrolled: 1-line block ×4, first 2 shown]
	v_add_f64 v[80:81], v[38:39], -v[70:71]
	v_add_f64 v[32:33], v[108:109], v[56:57]
	v_add_f64 v[82:83], v[102:103], -v[74:75]
	v_add_f64 v[34:35], v[106:107], v[28:29]
	v_fma_f64 v[130:131], v[52:53], s[16:17], v[44:45]
	v_fma_f64 v[132:133], v[58:59], s[16:17], -v[46:47]
	v_fma_f64 v[44:45], v[52:53], s[16:17], -v[44:45]
	v_fma_f64 v[46:47], v[58:59], s[16:17], v[46:47]
	v_fma_f64 v[134:135], v[72:73], s[0:1], v[104:105]
	v_add_f64 v[120:121], v[42:43], v[120:121]
	v_add_f64 v[122:123], v[40:41], v[122:123]
	v_add_f64 v[96:97], v[100:101], -v[36:37]
	v_fma_f64 v[48:49], v[12:13], s[16:17], -v[48:49]
	s_mov_b32 s2, 0xb2365da1
	s_mov_b32 s3, 0xbfd6b1d8
	;; [unrolled: 1-line block ×4, first 2 shown]
	v_fma_f64 v[150:151], v[52:53], s[22:23], v[112:113]
	v_add_f64 v[60:61], v[60:61], v[124:125]
	v_mul_f64 v[142:143], v[86:87], s[36:37]
	v_add_f64 v[124:125], v[62:63], v[126:127]
	v_add_f64 v[126:127], v[64:65], v[88:89]
	;; [unrolled: 1-line block ×3, first 2 shown]
	v_add_f64 v[88:89], v[98:99], -v[94:95]
	v_add_f64 v[62:63], v[102:103], v[74:75]
	v_add_f64 v[64:65], v[38:39], v[70:71]
	v_mul_f64 v[128:129], v[80:81], s[18:19]
	v_mul_f64 v[138:139], v[82:83], s[18:19]
	v_fma_f64 v[144:145], v[32:33], s[22:23], v[50:51]
	v_fma_f64 v[146:147], v[34:35], s[22:23], -v[54:55]
	v_fma_f64 v[50:51], v[32:33], s[22:23], -v[50:51]
	v_fma_f64 v[148:149], v[34:35], s[22:23], v[54:55]
	v_fma_f64 v[152:153], v[58:59], s[22:23], -v[114:115]
	v_add_f64 v[120:121], v[134:135], v[120:121]
	v_add_f64 v[122:123], v[136:137], v[122:123]
	;; [unrolled: 1-line block ×3, first 2 shown]
	v_mul_f64 v[136:137], v[8:9], s[18:19]
	v_mul_f64 v[154:155], v[18:19], s[18:19]
	v_fma_f64 v[104:105], v[72:73], s[0:1], -v[104:105]
	v_add_f64 v[48:49], v[42:43], v[48:49]
	v_add_f64 v[130:131], v[130:131], v[60:61]
	;; [unrolled: 1-line block ×6, first 2 shown]
	v_mul_f64 v[118:119], v[88:89], s[6:7]
	v_mul_f64 v[126:127], v[96:97], s[6:7]
	s_mov_b32 s35, 0xbfefc445
	v_fma_f64 v[156:157], v[62:63], s[2:3], v[128:129]
	v_fma_f64 v[158:159], v[64:65], s[2:3], -v[138:139]
	v_fma_f64 v[128:129], v[62:63], s[2:3], -v[128:129]
	v_fma_f64 v[138:139], v[64:65], s[2:3], v[138:139]
	s_mov_b32 s39, 0x3fe5384d
	s_mov_b32 s34, s6
	;; [unrolled: 1-line block ×3, first 2 shown]
	v_mul_f64 v[140:141], v[84:85], s[36:37]
	v_fma_f64 v[162:163], v[34:35], s[14:15], -v[142:143]
	v_add_f64 v[120:121], v[150:151], v[120:121]
	v_add_f64 v[122:123], v[152:153], v[122:123]
	v_fma_f64 v[152:153], v[12:13], s[2:3], v[136:137]
	v_fma_f64 v[166:167], v[10:11], s[2:3], -v[154:155]
	v_fma_f64 v[116:117], v[66:67], s[0:1], v[116:117]
	v_add_f64 v[130:131], v[144:145], v[130:131]
	v_fma_f64 v[112:113], v[52:53], s[22:23], -v[112:113]
	v_add_f64 v[124:125], v[146:147], v[124:125]
	v_add_f64 v[44:45], v[50:51], v[44:45]
	v_fma_f64 v[50:51], v[10:11], s[16:17], v[110:111]
	v_add_f64 v[46:47], v[148:149], v[46:47]
	v_mul_f64 v[110:111], v[16:17], s[38:39]
	v_mul_f64 v[148:149], v[14:15], s[38:39]
	v_fma_f64 v[150:151], v[60:61], s[0:1], v[118:119]
	v_fma_f64 v[164:165], v[54:55], s[0:1], -v[126:127]
	v_fma_f64 v[118:119], v[60:61], s[0:1], -v[118:119]
	v_add_f64 v[104:105], v[104:105], v[48:49]
	v_fma_f64 v[126:127], v[54:55], s[0:1], v[126:127]
	v_add_f64 v[26:27], v[42:43], v[26:27]
	v_add_f64 v[24:25], v[40:41], v[24:25]
	v_mul_f64 v[132:133], v[80:81], s[26:27]
	v_fma_f64 v[160:161], v[32:33], s[14:15], v[140:141]
	v_fma_f64 v[136:137], v[12:13], s[2:3], -v[136:137]
	v_add_f64 v[122:123], v[162:163], v[122:123]
	v_mul_f64 v[162:163], v[92:93], s[26:27]
	v_add_f64 v[152:153], v[42:43], v[152:153]
	v_add_f64 v[166:167], v[40:41], v[166:167]
	v_add_f64 v[130:131], v[156:157], v[130:131]
	v_mul_f64 v[156:157], v[8:9], s[34:35]
	v_add_f64 v[124:125], v[158:159], v[124:125]
	v_add_f64 v[128:129], v[128:129], v[44:45]
	;; [unrolled: 1-line block ×4, first 2 shown]
	v_fma_f64 v[172:173], v[72:73], s[16:17], v[110:111]
	v_fma_f64 v[176:177], v[66:67], s[16:17], -v[148:149]
	v_fma_f64 v[154:155], v[10:11], s[2:3], v[154:155]
	v_fma_f64 v[114:115], v[58:59], s[22:23], v[114:115]
	s_mov_b32 s41, 0x3fedeba7
	v_add_f64 v[104:105], v[112:113], v[104:105]
	v_mul_f64 v[112:113], v[18:19], s[34:35]
	s_mov_b32 s40, s18
	v_add_f64 v[22:23], v[26:27], v[22:23]
	v_add_f64 v[20:21], v[24:25], v[20:21]
	v_mul_f64 v[134:135], v[82:83], s[26:27]
	v_fma_f64 v[168:169], v[62:63], s[12:13], v[132:133]
	v_add_f64 v[120:121], v[160:161], v[120:121]
	v_mul_f64 v[160:161], v[90:91], s[26:27]
	v_fma_f64 v[110:111], v[72:73], s[16:17], -v[110:111]
	v_add_f64 v[136:137], v[42:43], v[136:137]
	v_add_f64 v[46:47], v[150:151], v[130:131]
	v_fma_f64 v[150:151], v[58:59], s[12:13], -v[162:163]
	v_add_f64 v[44:45], v[164:165], v[124:125]
	v_add_f64 v[50:51], v[118:119], v[128:129]
	v_mul_f64 v[118:119], v[16:17], s[20:21]
	v_fma_f64 v[124:125], v[12:13], s[0:1], v[156:157]
	v_add_f64 v[116:117], v[116:117], v[158:159]
	v_add_f64 v[48:49], v[126:127], v[138:139]
	v_fma_f64 v[126:127], v[32:33], s[14:15], -v[140:141]
	v_add_f64 v[138:139], v[172:173], v[152:153]
	v_add_f64 v[152:153], v[176:177], v[166:167]
	v_fma_f64 v[148:149], v[66:67], s[16:17], v[148:149]
	v_add_f64 v[154:155], v[40:41], v[154:155]
	v_fma_f64 v[142:143], v[34:35], s[14:15], v[142:143]
	v_mul_f64 v[158:159], v[90:91], s[40:41]
	v_fma_f64 v[166:167], v[10:11], s[0:1], -v[112:113]
	v_add_f64 v[22:23], v[22:23], v[68:69]
	v_add_f64 v[20:21], v[20:21], v[30:31]
	v_mul_f64 v[144:145], v[88:89], s[18:19]
	v_fma_f64 v[170:171], v[64:65], s[12:13], -v[134:135]
	v_mul_f64 v[128:129], v[84:85], s[34:35]
	v_fma_f64 v[130:131], v[52:53], s[12:13], v[160:161]
	v_mul_f64 v[140:141], v[86:87], s[34:35]
	v_add_f64 v[24:25], v[110:111], v[136:137]
	v_fma_f64 v[110:111], v[58:59], s[12:13], v[162:163]
	v_mul_f64 v[136:137], v[84:85], s[26:27]
	v_fma_f64 v[164:165], v[72:73], s[14:15], v[118:119]
	v_add_f64 v[124:125], v[42:43], v[124:125]
	v_add_f64 v[114:115], v[114:115], v[116:117]
	v_fma_f64 v[116:117], v[62:63], s[12:13], -v[132:133]
	v_mul_f64 v[132:133], v[14:15], s[20:21]
	v_add_f64 v[26:27], v[126:127], v[104:105]
	v_fma_f64 v[104:105], v[12:13], s[0:1], -v[156:157]
	v_add_f64 v[150:151], v[150:151], v[152:153]
	v_fma_f64 v[152:153], v[52:53], s[12:13], -v[160:161]
	v_add_f64 v[126:127], v[148:149], v[154:155]
	v_fma_f64 v[148:149], v[52:53], s[2:3], v[158:159]
	v_add_f64 v[156:157], v[40:41], v[166:167]
	v_fma_f64 v[30:31], v[72:73], s[14:15], -v[118:119]
	v_add_f64 v[22:23], v[22:23], v[108:109]
	v_add_f64 v[20:21], v[20:21], v[106:107]
	v_fma_f64 v[174:175], v[60:61], s[2:3], v[144:145]
	v_add_f64 v[120:121], v[168:169], v[120:121]
	v_add_f64 v[122:123], v[170:171], v[122:123]
	v_mul_f64 v[168:169], v[80:81], s[36:37]
	v_fma_f64 v[170:171], v[32:33], s[0:1], v[128:129]
	v_add_f64 v[130:131], v[130:131], v[138:139]
	v_fma_f64 v[172:173], v[34:35], s[0:1], -v[140:141]
	v_fma_f64 v[128:129], v[32:33], s[0:1], -v[128:129]
	v_add_f64 v[124:125], v[164:165], v[124:125]
	v_add_f64 v[114:115], v[142:143], v[114:115]
	v_mul_f64 v[142:143], v[92:93], s[40:41]
	v_fma_f64 v[154:155], v[66:67], s[14:15], -v[132:133]
	v_fma_f64 v[118:119], v[60:61], s[2:3], -v[144:145]
	v_add_f64 v[68:69], v[42:43], v[104:105]
	v_fma_f64 v[104:105], v[34:35], s[0:1], v[140:141]
	v_add_f64 v[24:25], v[152:153], v[24:25]
	v_add_f64 v[110:111], v[110:111], v[126:127]
	v_fma_f64 v[140:141], v[32:33], s[12:13], v[136:137]
	v_add_f64 v[26:27], v[116:117], v[26:27]
	v_mul_f64 v[116:117], v[86:87], s[26:27]
	v_fma_f64 v[106:107], v[52:53], s[2:3], -v[158:159]
	v_mul_f64 v[158:159], v[96:97], s[26:27]
	v_add_f64 v[22:23], v[22:23], v[102:103]
	v_add_f64 v[20:21], v[20:21], v[38:39]
	v_mul_f64 v[138:139], v[82:83], s[36:37]
	v_fma_f64 v[162:163], v[62:63], s[14:15], v[168:169]
	v_mul_f64 v[164:165], v[96:97], s[28:29]
	v_add_f64 v[130:131], v[170:171], v[130:131]
	v_fma_f64 v[136:137], v[32:33], s[12:13], -v[136:137]
	v_add_f64 v[150:151], v[172:173], v[150:151]
	v_add_f64 v[124:125], v[148:149], v[124:125]
	v_mul_f64 v[126:127], v[80:81], s[30:31]
	v_fma_f64 v[144:145], v[58:59], s[2:3], -v[142:143]
	v_add_f64 v[148:149], v[154:155], v[156:157]
	v_mul_f64 v[156:157], v[88:89], s[26:27]
	v_add_f64 v[30:31], v[30:31], v[68:69]
	s_mov_b32 s27, 0xbfddbe06
	v_fma_f64 v[154:155], v[62:63], s[14:15], -v[168:169]
	v_add_f64 v[24:25], v[128:129], v[24:25]
	v_add_f64 v[104:105], v[104:105], v[110:111]
	v_fma_f64 v[110:111], v[10:11], s[0:1], v[112:113]
	v_mul_f64 v[38:39], v[18:19], s[26:27]
	v_mul_f64 v[18:19], v[18:19], s[30:31]
	v_fma_f64 v[142:143], v[58:59], s[2:3], v[142:143]
	v_add_f64 v[22:23], v[22:23], v[100:101]
	v_add_f64 v[20:21], v[20:21], v[98:99]
	v_fma_f64 v[166:167], v[64:65], s[14:15], -v[138:139]
	v_fma_f64 v[68:69], v[64:65], s[14:15], v[138:139]
	v_fma_f64 v[152:153], v[54:55], s[22:23], -v[164:165]
	v_add_f64 v[130:131], v[162:163], v[130:131]
	v_fma_f64 v[102:103], v[54:55], s[22:23], v[164:165]
	v_mul_f64 v[164:165], v[14:15], s[18:19]
	v_add_f64 v[124:125], v[140:141], v[124:125]
	v_fma_f64 v[140:141], v[34:35], s[12:13], -v[116:117]
	v_mul_f64 v[14:15], v[14:15], s[30:31]
	v_add_f64 v[144:145], v[144:145], v[148:149]
	v_mul_f64 v[148:149], v[8:9], s[30:31]
	v_mul_f64 v[8:9], v[8:9], s[26:27]
	v_add_f64 v[30:31], v[106:107], v[30:31]
	v_fma_f64 v[106:107], v[66:67], s[14:15], v[132:133]
	v_add_f64 v[24:25], v[154:155], v[24:25]
	v_mul_f64 v[154:155], v[16:17], s[18:19]
	v_add_f64 v[110:111], v[40:41], v[110:111]
	v_mul_f64 v[16:17], v[16:17], s[30:31]
	v_fma_f64 v[98:99], v[10:11], s[12:13], v[38:39]
	v_fma_f64 v[100:101], v[10:11], s[22:23], v[18:19]
	v_fma_f64 v[18:19], v[10:11], s[22:23], -v[18:19]
	v_fma_f64 v[10:11], v[10:11], s[12:13], -v[38:39]
	v_add_f64 v[22:23], v[22:23], v[36:37]
	v_add_f64 v[20:21], v[20:21], v[94:95]
	;; [unrolled: 1-line block ×3, first 2 shown]
	v_mul_f64 v[138:139], v[82:83], s[30:31]
	v_fma_f64 v[116:117], v[34:35], s[12:13], v[116:117]
	v_fma_f64 v[134:135], v[64:65], s[12:13], v[134:135]
	v_mul_f64 v[160:161], v[88:89], s[28:29]
	v_mul_f64 v[108:109], v[88:89], s[24:25]
	v_fma_f64 v[168:169], v[66:67], s[22:23], v[14:15]
	v_add_f64 v[140:141], v[140:141], v[144:145]
	v_fma_f64 v[162:163], v[12:13], s[22:23], -v[148:149]
	v_fma_f64 v[144:145], v[12:13], s[12:13], -v[8:9]
	v_add_f64 v[30:31], v[136:137], v[30:31]
	v_fma_f64 v[136:137], v[12:13], s[22:23], v[148:149]
	v_fma_f64 v[8:9], v[12:13], s[12:13], v[8:9]
	v_mul_f64 v[12:13], v[92:93], s[20:21]
	v_add_f64 v[106:107], v[106:107], v[110:111]
	v_mul_f64 v[110:111], v[90:91], s[20:21]
	v_fma_f64 v[38:39], v[72:73], s[2:3], -v[154:155]
	v_mul_f64 v[90:91], v[90:91], s[34:35]
	v_mul_f64 v[92:93], v[92:93], s[34:35]
	v_fma_f64 v[166:167], v[72:73], s[22:23], -v[16:17]
	v_add_f64 v[36:37], v[40:41], v[98:99]
	v_add_f64 v[94:95], v[40:41], v[100:101]
	v_fma_f64 v[100:101], v[72:73], s[2:3], v[154:155]
	v_add_f64 v[18:19], v[40:41], v[18:19]
	v_fma_f64 v[16:17], v[72:73], s[22:23], v[16:17]
	v_fma_f64 v[14:15], v[66:67], s[22:23], -v[14:15]
	v_add_f64 v[10:11], v[40:41], v[10:11]
	v_add_f64 v[22:23], v[22:23], v[74:75]
	;; [unrolled: 1-line block ×3, first 2 shown]
	v_mul_f64 v[98:99], v[84:85], s[38:39]
	v_add_f64 v[148:149], v[42:43], v[162:163]
	v_add_f64 v[144:145], v[42:43], v[144:145]
	v_fma_f64 v[162:163], v[66:67], s[2:3], v[164:165]
	v_add_f64 v[136:137], v[42:43], v[136:137]
	v_fma_f64 v[164:165], v[66:67], s[2:3], -v[164:165]
	v_add_f64 v[8:9], v[42:43], v[8:9]
	v_mul_f64 v[154:155], v[86:87], s[38:39]
	v_fma_f64 v[40:41], v[52:53], s[14:15], -v[110:111]
	v_mul_f64 v[66:67], v[84:85], s[18:19]
	v_mul_f64 v[72:73], v[86:87], s[18:19]
	v_fma_f64 v[84:85], v[52:53], s[0:1], -v[90:91]
	v_fma_f64 v[42:43], v[58:59], s[14:15], v[12:13]
	v_add_f64 v[36:37], v[168:169], v[36:37]
	v_fma_f64 v[12:13], v[58:59], s[14:15], -v[12:13]
	v_mul_f64 v[74:75], v[80:81], s[6:7]
	v_fma_f64 v[112:113], v[62:63], s[22:23], v[126:127]
	v_mul_f64 v[128:129], v[96:97], s[24:25]
	v_fma_f64 v[126:127], v[62:63], s[22:23], -v[126:127]
	v_add_f64 v[10:11], v[14:15], v[10:11]
	v_add_f64 v[22:23], v[22:23], v[56:57]
	;; [unrolled: 1-line block ×3, first 2 shown]
	v_fma_f64 v[14:15], v[32:33], s[16:17], -v[98:99]
	v_add_f64 v[38:39], v[38:39], v[148:149]
	v_add_f64 v[86:87], v[166:167], v[144:145]
	v_fma_f64 v[144:145], v[58:59], s[0:1], v[92:93]
	v_add_f64 v[70:71], v[162:163], v[94:95]
	v_fma_f64 v[94:95], v[52:53], s[14:15], v[110:111]
	v_add_f64 v[100:101], v[100:101], v[136:137]
	v_add_f64 v[18:19], v[164:165], v[18:19]
	v_fma_f64 v[52:53], v[52:53], s[0:1], v[90:91]
	v_add_f64 v[8:9], v[16:17], v[8:9]
	v_fma_f64 v[16:17], v[58:59], s[0:1], -v[92:93]
	v_mul_f64 v[110:111], v[82:83], s[6:7]
	v_mul_f64 v[58:59], v[80:81], s[24:25]
	;; [unrolled: 1-line block ×3, first 2 shown]
	v_fma_f64 v[82:83], v[32:33], s[2:3], -v[66:67]
	v_fma_f64 v[92:93], v[34:35], s[16:17], -v[154:155]
	v_fma_f64 v[56:57], v[64:65], s[22:23], v[138:139]
	v_mul_f64 v[146:147], v[96:97], s[18:19]
	v_fma_f64 v[132:133], v[64:65], s[22:23], -v[138:139]
	v_add_f64 v[114:115], v[134:135], v[114:115]
	v_add_f64 v[6:7], v[22:23], v[6:7]
	;; [unrolled: 1-line block ×3, first 2 shown]
	v_fma_f64 v[134:135], v[60:61], s[22:23], v[160:161]
	v_add_f64 v[38:39], v[40:41], v[38:39]
	v_add_f64 v[84:85], v[84:85], v[86:87]
	v_fma_f64 v[86:87], v[34:35], s[2:3], v[72:73]
	v_add_f64 v[28:29], v[144:145], v[36:37]
	v_fma_f64 v[40:41], v[34:35], s[16:17], v[154:155]
	v_add_f64 v[36:37], v[42:43], v[70:71]
	v_add_f64 v[42:43], v[142:143], v[106:107]
	v_fma_f64 v[70:71], v[32:33], s[16:17], v[98:99]
	v_add_f64 v[90:91], v[94:95], v[100:101]
	;; [unrolled: 3-line block ×3, first 2 shown]
	v_fma_f64 v[32:33], v[34:35], s[2:3], -v[72:73]
	v_add_f64 v[10:11], v[16:17], v[10:11]
	v_mul_f64 v[52:53], v[96:97], s[20:21]
	v_fma_f64 v[66:67], v[62:63], s[16:17], -v[58:59]
	v_fma_f64 v[16:17], v[62:63], s[0:1], -v[74:75]
	v_fma_f64 v[34:35], v[64:65], s[0:1], v[110:111]
	v_fma_f64 v[58:59], v[62:63], s[16:17], v[58:59]
	v_fma_f64 v[160:161], v[60:61], s[22:23], -v[160:161]
	v_add_f64 v[30:31], v[126:127], v[30:31]
	v_add_f64 v[68:69], v[68:69], v[104:105]
	;; [unrolled: 1-line block ×3, first 2 shown]
	v_mul_f64 v[38:39], v[88:89], s[20:21]
	v_add_f64 v[72:73], v[82:83], v[84:85]
	v_fma_f64 v[82:83], v[64:65], s[16:17], v[80:81]
	v_add_f64 v[20:21], v[86:87], v[28:29]
	v_add_f64 v[22:23], v[40:41], v[36:37]
	;; [unrolled: 1-line block ×3, first 2 shown]
	v_fma_f64 v[40:41], v[62:63], s[0:1], v[74:75]
	v_add_f64 v[42:43], v[70:71], v[90:91]
	v_fma_f64 v[70:71], v[64:65], s[0:1], -v[110:111]
	v_add_f64 v[12:13], v[92:93], v[12:13]
	v_add_f64 v[8:9], v[18:19], v[8:9]
	v_fma_f64 v[18:19], v[64:65], s[16:17], -v[80:81]
	v_add_f64 v[10:11], v[32:33], v[10:11]
	v_add_f64 v[80:81], v[6:7], v[2:3]
	v_add_f64 v[84:85], v[4:5], v[0:1]
	v_fma_f64 v[62:63], v[60:61], s[12:13], -v[156:157]
	v_fma_f64 v[64:65], v[54:55], s[12:13], v[158:159]
	v_fma_f64 v[36:37], v[60:61], s[16:17], -v[108:109]
	v_fma_f64 v[32:33], v[54:55], s[16:17], v[128:129]
	;; [unrolled: 2-line block ×3, first 2 shown]
	v_add_f64 v[16:17], v[16:17], v[14:15]
	v_fma_f64 v[74:75], v[60:61], s[14:15], -v[38:39]
	v_add_f64 v[66:67], v[66:67], v[72:73]
	v_fma_f64 v[72:73], v[54:55], s[14:15], v[52:53]
	v_add_f64 v[20:21], v[82:83], v[20:21]
	v_add_f64 v[34:35], v[34:35], v[22:23]
	;; [unrolled: 1-line block ×3, first 2 shown]
	v_fma_f64 v[104:105], v[60:61], s[16:17], v[108:109]
	v_add_f64 v[112:113], v[112:113], v[124:125]
	v_fma_f64 v[124:125], v[54:55], s[16:17], -v[128:129]
	v_add_f64 v[56:57], v[132:133], v[140:141]
	v_fma_f64 v[82:83], v[60:61], s[12:13], v[156:157]
	v_add_f64 v[40:41], v[40:41], v[42:43]
	v_fma_f64 v[42:43], v[54:55], s[12:13], -v[158:159]
	v_add_f64 v[70:71], v[70:71], v[12:13]
	;; [unrolled: 4-line block ×3, first 2 shown]
	v_add_f64 v[6:7], v[118:119], v[26:27]
	v_add_f64 v[10:11], v[160:161], v[24:25]
	v_add_f64 v[26:27], v[80:81], v[76:77]
	v_add_f64 v[24:25], v[84:85], v[78:79]
	v_add_f64 v[18:19], v[62:63], v[16:17]
	v_add_f64 v[22:23], v[74:75], v[66:67]
	v_add_f64 v[14:15], v[36:37], v[30:31]
	v_add_f64 v[20:21], v[72:73], v[20:21]
	v_add_f64 v[16:17], v[64:65], v[34:35]
	v_add_f64 v[12:13], v[32:33], v[28:29]
	v_add_f64 v[8:9], v[102:103], v[68:69]
	v_add_f64 v[4:5], v[146:147], v[114:115]
	v_add_f64 v[2:3], v[174:175], v[120:121]
	v_add_f64 v[0:1], v[178:179], v[122:123]
	v_add_f64 v[30:31], v[134:135], v[130:131]
	v_add_f64 v[28:29], v[152:153], v[150:151]
	v_add_f64 v[34:35], v[104:105], v[112:113]
	v_add_f64 v[32:33], v[124:125], v[56:57]
	v_add_f64 v[38:39], v[82:83], v[40:41]
	v_add_f64 v[36:37], v[42:43], v[70:71]
	v_add_f64 v[42:43], v[60:61], v[58:59]
	v_add_f64 v[40:41], v[52:53], v[54:55]
	ds_write_b128 v255, v[24:27]
	ds_write_b128 v255, v[20:23] offset:1600
	ds_write_b128 v255, v[16:19] offset:3200
	ds_write_b128 v255, v[12:15] offset:4800
	ds_write_b128 v255, v[8:11] offset:6400
	ds_write_b128 v255, v[4:7] offset:8000
	ds_write_b128 v255, v[48:51] offset:9600
	ds_write_b128 v255, v[44:47] offset:11200
	ds_write_b128 v255, v[0:3] offset:12800
	ds_write_b128 v255, v[28:31] offset:14400
	ds_write_b128 v255, v[32:35] offset:16000
	ds_write_b128 v255, v[36:39] offset:17600
	ds_write_b128 v255, v[40:43] offset:19200
.LBB0_9:
	s_or_b32 exec_lo, exec_lo, s33
	s_waitcnt lgkmcnt(0)
	s_barrier
	buffer_gl0_inv
	ds_read_b128 v[0:3], v255
	ds_read_b128 v[4:7], v255 offset:2080
	ds_read_b128 v[8:11], v255 offset:4160
	;; [unrolled: 1-line block ×3, first 2 shown]
	s_clause 0x3
	buffer_load_dword v60, off, s[44:47], 0 offset:96
	buffer_load_dword v61, off, s[44:47], 0 offset:100
	;; [unrolled: 1-line block ×4, first 2 shown]
	ds_read_b128 v[16:19], v255 offset:8320
	ds_read_b128 v[20:23], v255 offset:10400
	;; [unrolled: 1-line block ×6, first 2 shown]
	s_clause 0x3
	buffer_load_dword v82, off, s[44:47], 0 offset:32
	buffer_load_dword v83, off, s[44:47], 0 offset:36
	;; [unrolled: 1-line block ×4, first 2 shown]
	v_mad_u64_u32 v[40:41], null, s10, v254, 0
	v_mad_u64_u32 v[42:43], null, s8, v236, 0
	s_clause 0x7
	buffer_load_dword v78, off, s[44:47], 0 offset:16
	buffer_load_dword v79, off, s[44:47], 0 offset:20
	;; [unrolled: 1-line block ×4, first 2 shown]
	buffer_load_dword v74, off, s[44:47], 0
	buffer_load_dword v75, off, s[44:47], 0 offset:4
	buffer_load_dword v76, off, s[44:47], 0 offset:8
	;; [unrolled: 1-line block ×3, first 2 shown]
	s_mov_b32 s0, 0x7f9b2ce6
	s_mov_b32 s1, 0x3f4934c6
	s_mul_i32 s3, s9, 0x820
	s_mul_hi_u32 s6, s8, 0x820
	v_mad_u64_u32 v[52:53], null, s11, v254, v[41:42]
	s_mul_i32 s2, s8, 0x820
	s_add_i32 s6, s6, s3
	s_waitcnt lgkmcnt(9)
	v_mul_f64 v[44:45], v[239:240], v[2:3]
	v_mul_f64 v[46:47], v[239:240], v[0:1]
	v_mov_b32_e32 v41, v52
	v_lshlrev_b64 v[40:41], 4, v[40:41]
	v_add_co_u32 v40, vcc_lo, s4, v40
	v_add_co_ci_u32_e32 v41, vcc_lo, s5, v41, vcc_lo
	v_mad_u64_u32 v[53:54], null, s9, v236, v[43:44]
	v_fma_f64 v[0:1], v[237:238], v[0:1], v[44:45]
	v_fma_f64 v[2:3], v[237:238], v[2:3], -v[46:47]
	s_waitcnt lgkmcnt(5)
	v_mul_f64 v[46:47], v[227:228], v[18:19]
	v_mov_b32_e32 v43, v53
	v_lshlrev_b64 v[42:43], 4, v[42:43]
	v_add_co_u32 v40, vcc_lo, v40, v42
	v_add_co_ci_u32_e32 v41, vcc_lo, v41, v43, vcc_lo
	v_mul_f64 v[0:1], v[0:1], s[0:1]
	v_mul_f64 v[2:3], v[2:3], s[0:1]
	s_waitcnt vmcnt(12)
	v_mul_f64 v[48:49], v[62:63], v[6:7]
	v_mul_f64 v[50:51], v[62:63], v[4:5]
	s_waitcnt vmcnt(8)
	v_mul_f64 v[54:55], v[84:85], v[10:11]
	v_mul_f64 v[56:57], v[84:85], v[8:9]
	s_clause 0x3
	buffer_load_dword v84, off, s[44:47], 0 offset:48
	buffer_load_dword v85, off, s[44:47], 0 offset:52
	;; [unrolled: 1-line block ×4, first 2 shown]
	s_waitcnt vmcnt(8)
	v_mul_f64 v[58:59], v[80:81], v[14:15]
	v_mul_f64 v[44:45], v[80:81], v[12:13]
	s_waitcnt vmcnt(4) lgkmcnt(3)
	v_mul_f64 v[62:63], v[76:77], v[26:27]
	v_mul_f64 v[64:65], v[76:77], v[24:25]
	v_fma_f64 v[4:5], v[60:61], v[4:5], v[48:49]
	v_fma_f64 v[6:7], v[60:61], v[6:7], -v[50:51]
	v_mul_f64 v[48:49], v[227:228], v[16:17]
	v_mul_f64 v[50:51], v[247:248], v[22:23]
	;; [unrolled: 1-line block ×3, first 2 shown]
	v_fma_f64 v[8:9], v[82:83], v[8:9], v[54:55]
	v_fma_f64 v[10:11], v[82:83], v[10:11], -v[56:57]
	v_fma_f64 v[12:13], v[78:79], v[12:13], v[58:59]
	v_fma_f64 v[14:15], v[78:79], v[14:15], -v[44:45]
	v_fma_f64 v[16:17], v[225:226], v[16:17], v[46:47]
	v_add_co_u32 v44, vcc_lo, v40, s2
	v_fma_f64 v[24:25], v[74:75], v[24:25], v[62:63]
	v_fma_f64 v[26:27], v[74:75], v[26:27], -v[64:65]
	v_add_co_ci_u32_e32 v45, vcc_lo, s6, v41, vcc_lo
	v_add_co_u32 v46, vcc_lo, v44, s2
	v_add_co_ci_u32_e32 v47, vcc_lo, s6, v45, vcc_lo
	v_mul_f64 v[4:5], v[4:5], s[0:1]
	v_mul_f64 v[6:7], v[6:7], s[0:1]
	v_fma_f64 v[18:19], v[225:226], v[18:19], -v[48:49]
	v_fma_f64 v[20:21], v[245:246], v[20:21], v[50:51]
	v_fma_f64 v[22:23], v[245:246], v[22:23], -v[60:61]
	v_mul_f64 v[8:9], v[8:9], s[0:1]
	v_mul_f64 v[10:11], v[10:11], s[0:1]
	s_waitcnt vmcnt(0) lgkmcnt(2)
	v_mul_f64 v[66:67], v[86:87], v[30:31]
	v_mul_f64 v[68:69], v[86:87], v[28:29]
	s_clause 0x3
	buffer_load_dword v86, off, s[44:47], 0 offset:64
	buffer_load_dword v87, off, s[44:47], 0 offset:68
	buffer_load_dword v88, off, s[44:47], 0 offset:72
	buffer_load_dword v89, off, s[44:47], 0 offset:76
	v_fma_f64 v[28:29], v[84:85], v[28:29], v[66:67]
	v_fma_f64 v[30:31], v[84:85], v[30:31], -v[68:69]
	s_waitcnt vmcnt(0) lgkmcnt(1)
	v_mul_f64 v[52:53], v[88:89], v[34:35]
	v_mul_f64 v[70:71], v[88:89], v[32:33]
	s_clause 0x3
	buffer_load_dword v88, off, s[44:47], 0 offset:80
	buffer_load_dword v89, off, s[44:47], 0 offset:84
	buffer_load_dword v90, off, s[44:47], 0 offset:88
	buffer_load_dword v91, off, s[44:47], 0 offset:92
	global_store_dwordx4 v[40:41], v[0:3], off
	global_store_dwordx4 v[44:45], v[4:7], off
	v_add_co_u32 v40, vcc_lo, v46, s2
	v_add_co_ci_u32_e32 v41, vcc_lo, s6, v47, vcc_lo
	v_mul_f64 v[0:1], v[12:13], s[0:1]
	v_mul_f64 v[2:3], v[14:15], s[0:1]
	v_mul_f64 v[4:5], v[16:17], s[0:1]
	v_mul_f64 v[6:7], v[18:19], s[0:1]
	v_mul_f64 v[12:13], v[20:21], s[0:1]
	v_mul_f64 v[14:15], v[22:23], s[0:1]
	v_mul_f64 v[16:17], v[24:25], s[0:1]
	v_mul_f64 v[18:19], v[26:27], s[0:1]
	v_mul_f64 v[20:21], v[28:29], s[0:1]
	v_mul_f64 v[22:23], v[30:31], s[0:1]
	global_store_dwordx4 v[46:47], v[8:11], off
	v_fma_f64 v[32:33], v[86:87], v[32:33], v[52:53]
	v_fma_f64 v[34:35], v[86:87], v[34:35], -v[70:71]
	global_store_dwordx4 v[40:41], v[0:3], off
	v_mul_f64 v[24:25], v[32:33], s[0:1]
	v_mul_f64 v[26:27], v[34:35], s[0:1]
	s_waitcnt vmcnt(0) lgkmcnt(0)
	v_mul_f64 v[72:73], v[90:91], v[38:39]
	v_mul_f64 v[42:43], v[90:91], v[36:37]
	v_fma_f64 v[36:37], v[88:89], v[36:37], v[72:73]
	v_fma_f64 v[38:39], v[88:89], v[38:39], -v[42:43]
	v_add_co_u32 v42, vcc_lo, v40, s2
	v_add_co_ci_u32_e32 v43, vcc_lo, s6, v41, vcc_lo
	v_add_co_u32 v44, vcc_lo, v42, s2
	v_add_co_ci_u32_e32 v45, vcc_lo, s6, v43, vcc_lo
	global_store_dwordx4 v[42:43], v[4:7], off
	v_add_co_u32 v32, vcc_lo, v44, s2
	v_add_co_ci_u32_e32 v33, vcc_lo, s6, v45, vcc_lo
	v_add_co_u32 v8, vcc_lo, v32, s2
	v_add_co_ci_u32_e32 v9, vcc_lo, s6, v33, vcc_lo
	v_mul_f64 v[28:29], v[36:37], s[0:1]
	v_mul_f64 v[30:31], v[38:39], s[0:1]
	v_add_co_u32 v0, vcc_lo, v8, s2
	v_add_co_ci_u32_e32 v1, vcc_lo, s6, v9, vcc_lo
	v_add_co_u32 v2, vcc_lo, v0, s2
	v_add_co_ci_u32_e32 v3, vcc_lo, s6, v1, vcc_lo
	global_store_dwordx4 v[44:45], v[12:15], off
	global_store_dwordx4 v[32:33], v[16:19], off
	;; [unrolled: 1-line block ×5, first 2 shown]
.LBB0_10:
	s_endpgm
	.section	.rodata,"a",@progbits
	.p2align	6, 0x0
	.amdhsa_kernel bluestein_single_fwd_len1300_dim1_dp_op_CI_CI
		.amdhsa_group_segment_fixed_size 20800
		.amdhsa_private_segment_fixed_size 344
		.amdhsa_kernarg_size 104
		.amdhsa_user_sgpr_count 6
		.amdhsa_user_sgpr_private_segment_buffer 1
		.amdhsa_user_sgpr_dispatch_ptr 0
		.amdhsa_user_sgpr_queue_ptr 0
		.amdhsa_user_sgpr_kernarg_segment_ptr 1
		.amdhsa_user_sgpr_dispatch_id 0
		.amdhsa_user_sgpr_flat_scratch_init 0
		.amdhsa_user_sgpr_private_segment_size 0
		.amdhsa_wavefront_size32 1
		.amdhsa_uses_dynamic_stack 0
		.amdhsa_system_sgpr_private_segment_wavefront_offset 1
		.amdhsa_system_sgpr_workgroup_id_x 1
		.amdhsa_system_sgpr_workgroup_id_y 0
		.amdhsa_system_sgpr_workgroup_id_z 0
		.amdhsa_system_sgpr_workgroup_info 0
		.amdhsa_system_vgpr_workitem_id 0
		.amdhsa_next_free_vgpr 256
		.amdhsa_next_free_sgpr 48
		.amdhsa_reserve_vcc 1
		.amdhsa_reserve_flat_scratch 0
		.amdhsa_float_round_mode_32 0
		.amdhsa_float_round_mode_16_64 0
		.amdhsa_float_denorm_mode_32 3
		.amdhsa_float_denorm_mode_16_64 3
		.amdhsa_dx10_clamp 1
		.amdhsa_ieee_mode 1
		.amdhsa_fp16_overflow 0
		.amdhsa_workgroup_processor_mode 1
		.amdhsa_memory_ordered 1
		.amdhsa_forward_progress 0
		.amdhsa_shared_vgpr_count 0
		.amdhsa_exception_fp_ieee_invalid_op 0
		.amdhsa_exception_fp_denorm_src 0
		.amdhsa_exception_fp_ieee_div_zero 0
		.amdhsa_exception_fp_ieee_overflow 0
		.amdhsa_exception_fp_ieee_underflow 0
		.amdhsa_exception_fp_ieee_inexact 0
		.amdhsa_exception_int_div_zero 0
	.end_amdhsa_kernel
	.text
.Lfunc_end0:
	.size	bluestein_single_fwd_len1300_dim1_dp_op_CI_CI, .Lfunc_end0-bluestein_single_fwd_len1300_dim1_dp_op_CI_CI
                                        ; -- End function
	.section	.AMDGPU.csdata,"",@progbits
; Kernel info:
; codeLenInByte = 19868
; NumSgprs: 50
; NumVgprs: 256
; ScratchSize: 344
; MemoryBound: 0
; FloatMode: 240
; IeeeMode: 1
; LDSByteSize: 20800 bytes/workgroup (compile time only)
; SGPRBlocks: 6
; VGPRBlocks: 31
; NumSGPRsForWavesPerEU: 50
; NumVGPRsForWavesPerEU: 256
; Occupancy: 4
; WaveLimiterHint : 1
; COMPUTE_PGM_RSRC2:SCRATCH_EN: 1
; COMPUTE_PGM_RSRC2:USER_SGPR: 6
; COMPUTE_PGM_RSRC2:TRAP_HANDLER: 0
; COMPUTE_PGM_RSRC2:TGID_X_EN: 1
; COMPUTE_PGM_RSRC2:TGID_Y_EN: 0
; COMPUTE_PGM_RSRC2:TGID_Z_EN: 0
; COMPUTE_PGM_RSRC2:TIDIG_COMP_CNT: 0
	.text
	.p2alignl 6, 3214868480
	.fill 48, 4, 3214868480
	.type	__hip_cuid_c26a543927069025,@object ; @__hip_cuid_c26a543927069025
	.section	.bss,"aw",@nobits
	.globl	__hip_cuid_c26a543927069025
__hip_cuid_c26a543927069025:
	.byte	0                               ; 0x0
	.size	__hip_cuid_c26a543927069025, 1

	.ident	"AMD clang version 19.0.0git (https://github.com/RadeonOpenCompute/llvm-project roc-6.4.0 25133 c7fe45cf4b819c5991fe208aaa96edf142730f1d)"
	.section	".note.GNU-stack","",@progbits
	.addrsig
	.addrsig_sym __hip_cuid_c26a543927069025
	.amdgpu_metadata
---
amdhsa.kernels:
  - .args:
      - .actual_access:  read_only
        .address_space:  global
        .offset:         0
        .size:           8
        .value_kind:     global_buffer
      - .actual_access:  read_only
        .address_space:  global
        .offset:         8
        .size:           8
        .value_kind:     global_buffer
      - .actual_access:  read_only
        .address_space:  global
        .offset:         16
        .size:           8
        .value_kind:     global_buffer
      - .actual_access:  read_only
        .address_space:  global
        .offset:         24
        .size:           8
        .value_kind:     global_buffer
      - .actual_access:  read_only
        .address_space:  global
        .offset:         32
        .size:           8
        .value_kind:     global_buffer
      - .offset:         40
        .size:           8
        .value_kind:     by_value
      - .address_space:  global
        .offset:         48
        .size:           8
        .value_kind:     global_buffer
      - .address_space:  global
        .offset:         56
        .size:           8
        .value_kind:     global_buffer
      - .address_space:  global
        .offset:         64
        .size:           8
        .value_kind:     global_buffer
      - .address_space:  global
        .offset:         72
        .size:           8
        .value_kind:     global_buffer
      - .offset:         80
        .size:           4
        .value_kind:     by_value
      - .address_space:  global
        .offset:         88
        .size:           8
        .value_kind:     global_buffer
      - .address_space:  global
        .offset:         96
        .size:           8
        .value_kind:     global_buffer
    .group_segment_fixed_size: 20800
    .kernarg_segment_align: 8
    .kernarg_segment_size: 104
    .language:       OpenCL C
    .language_version:
      - 2
      - 0
    .max_flat_workgroup_size: 130
    .name:           bluestein_single_fwd_len1300_dim1_dp_op_CI_CI
    .private_segment_fixed_size: 344
    .sgpr_count:     50
    .sgpr_spill_count: 0
    .symbol:         bluestein_single_fwd_len1300_dim1_dp_op_CI_CI.kd
    .uniform_work_group_size: 1
    .uses_dynamic_stack: false
    .vgpr_count:     256
    .vgpr_spill_count: 87
    .wavefront_size: 32
    .workgroup_processor_mode: 1
amdhsa.target:   amdgcn-amd-amdhsa--gfx1030
amdhsa.version:
  - 1
  - 2
...

	.end_amdgpu_metadata
